;; amdgpu-corpus repo=ROCm/rocFFT kind=compiled arch=gfx1030 opt=O3
	.text
	.amdgcn_target "amdgcn-amd-amdhsa--gfx1030"
	.amdhsa_code_object_version 6
	.protected	fft_rtc_back_len1092_factors_2_2_13_7_3_wgs_52_tpt_52_halfLds_sp_ip_CI_unitstride_sbrr_R2C_dirReg ; -- Begin function fft_rtc_back_len1092_factors_2_2_13_7_3_wgs_52_tpt_52_halfLds_sp_ip_CI_unitstride_sbrr_R2C_dirReg
	.globl	fft_rtc_back_len1092_factors_2_2_13_7_3_wgs_52_tpt_52_halfLds_sp_ip_CI_unitstride_sbrr_R2C_dirReg
	.p2align	8
	.type	fft_rtc_back_len1092_factors_2_2_13_7_3_wgs_52_tpt_52_halfLds_sp_ip_CI_unitstride_sbrr_R2C_dirReg,@function
fft_rtc_back_len1092_factors_2_2_13_7_3_wgs_52_tpt_52_halfLds_sp_ip_CI_unitstride_sbrr_R2C_dirReg: ; @fft_rtc_back_len1092_factors_2_2_13_7_3_wgs_52_tpt_52_halfLds_sp_ip_CI_unitstride_sbrr_R2C_dirReg
; %bb.0:
	s_clause 0x2
	s_load_dwordx4 s[8:11], s[4:5], 0x0
	s_load_dwordx2 s[2:3], s[4:5], 0x50
	s_load_dwordx2 s[12:13], s[4:5], 0x18
	v_mul_u32_u24_e32 v1, 0x4ed, v0
	v_mov_b32_e32 v3, 0
	v_add_nc_u32_sdwa v5, s6, v1 dst_sel:DWORD dst_unused:UNUSED_PAD src0_sel:DWORD src1_sel:WORD_1
	v_mov_b32_e32 v1, 0
	v_mov_b32_e32 v6, v3
	v_mov_b32_e32 v2, 0
	s_waitcnt lgkmcnt(0)
	v_cmp_lt_u64_e64 s0, s[10:11], 2
	s_and_b32 vcc_lo, exec_lo, s0
	s_cbranch_vccnz .LBB0_8
; %bb.1:
	s_load_dwordx2 s[0:1], s[4:5], 0x10
	v_mov_b32_e32 v1, 0
	s_add_u32 s6, s12, 8
	v_mov_b32_e32 v2, 0
	s_addc_u32 s7, s13, 0
	s_mov_b64 s[16:17], 1
	s_waitcnt lgkmcnt(0)
	s_add_u32 s14, s0, 8
	s_addc_u32 s15, s1, 0
.LBB0_2:                                ; =>This Inner Loop Header: Depth=1
	s_load_dwordx2 s[18:19], s[14:15], 0x0
                                        ; implicit-def: $vgpr7_vgpr8
	s_mov_b32 s0, exec_lo
	s_waitcnt lgkmcnt(0)
	v_or_b32_e32 v4, s19, v6
	v_cmpx_ne_u64_e32 0, v[3:4]
	s_xor_b32 s1, exec_lo, s0
	s_cbranch_execz .LBB0_4
; %bb.3:                                ;   in Loop: Header=BB0_2 Depth=1
	v_cvt_f32_u32_e32 v4, s18
	v_cvt_f32_u32_e32 v7, s19
	s_sub_u32 s0, 0, s18
	s_subb_u32 s20, 0, s19
	v_fmac_f32_e32 v4, 0x4f800000, v7
	v_rcp_f32_e32 v4, v4
	v_mul_f32_e32 v4, 0x5f7ffffc, v4
	v_mul_f32_e32 v7, 0x2f800000, v4
	v_trunc_f32_e32 v7, v7
	v_fmac_f32_e32 v4, 0xcf800000, v7
	v_cvt_u32_f32_e32 v7, v7
	v_cvt_u32_f32_e32 v4, v4
	v_mul_lo_u32 v8, s0, v7
	v_mul_hi_u32 v9, s0, v4
	v_mul_lo_u32 v10, s20, v4
	v_add_nc_u32_e32 v8, v9, v8
	v_mul_lo_u32 v9, s0, v4
	v_add_nc_u32_e32 v8, v8, v10
	v_mul_hi_u32 v10, v4, v9
	v_mul_lo_u32 v11, v4, v8
	v_mul_hi_u32 v12, v4, v8
	v_mul_hi_u32 v13, v7, v9
	v_mul_lo_u32 v9, v7, v9
	v_mul_hi_u32 v14, v7, v8
	v_mul_lo_u32 v8, v7, v8
	v_add_co_u32 v10, vcc_lo, v10, v11
	v_add_co_ci_u32_e32 v11, vcc_lo, 0, v12, vcc_lo
	v_add_co_u32 v9, vcc_lo, v10, v9
	v_add_co_ci_u32_e32 v9, vcc_lo, v11, v13, vcc_lo
	v_add_co_ci_u32_e32 v10, vcc_lo, 0, v14, vcc_lo
	v_add_co_u32 v8, vcc_lo, v9, v8
	v_add_co_ci_u32_e32 v9, vcc_lo, 0, v10, vcc_lo
	v_add_co_u32 v4, vcc_lo, v4, v8
	v_add_co_ci_u32_e32 v7, vcc_lo, v7, v9, vcc_lo
	v_mul_hi_u32 v8, s0, v4
	v_mul_lo_u32 v10, s20, v4
	v_mul_lo_u32 v9, s0, v7
	v_add_nc_u32_e32 v8, v8, v9
	v_mul_lo_u32 v9, s0, v4
	v_add_nc_u32_e32 v8, v8, v10
	v_mul_hi_u32 v10, v4, v9
	v_mul_lo_u32 v11, v4, v8
	v_mul_hi_u32 v12, v4, v8
	v_mul_hi_u32 v13, v7, v9
	v_mul_lo_u32 v9, v7, v9
	v_mul_hi_u32 v14, v7, v8
	v_mul_lo_u32 v8, v7, v8
	v_add_co_u32 v10, vcc_lo, v10, v11
	v_add_co_ci_u32_e32 v11, vcc_lo, 0, v12, vcc_lo
	v_add_co_u32 v9, vcc_lo, v10, v9
	v_add_co_ci_u32_e32 v9, vcc_lo, v11, v13, vcc_lo
	v_add_co_ci_u32_e32 v10, vcc_lo, 0, v14, vcc_lo
	v_add_co_u32 v8, vcc_lo, v9, v8
	v_add_co_ci_u32_e32 v9, vcc_lo, 0, v10, vcc_lo
	v_add_co_u32 v4, vcc_lo, v4, v8
	v_add_co_ci_u32_e32 v11, vcc_lo, v7, v9, vcc_lo
	v_mul_hi_u32 v13, v5, v4
	v_mad_u64_u32 v[9:10], null, v6, v4, 0
	v_mad_u64_u32 v[7:8], null, v5, v11, 0
	;; [unrolled: 1-line block ×3, first 2 shown]
	v_add_co_u32 v4, vcc_lo, v13, v7
	v_add_co_ci_u32_e32 v7, vcc_lo, 0, v8, vcc_lo
	v_add_co_u32 v4, vcc_lo, v4, v9
	v_add_co_ci_u32_e32 v4, vcc_lo, v7, v10, vcc_lo
	v_add_co_ci_u32_e32 v7, vcc_lo, 0, v12, vcc_lo
	v_add_co_u32 v4, vcc_lo, v4, v11
	v_add_co_ci_u32_e32 v9, vcc_lo, 0, v7, vcc_lo
	v_mul_lo_u32 v10, s19, v4
	v_mad_u64_u32 v[7:8], null, s18, v4, 0
	v_mul_lo_u32 v11, s18, v9
	v_sub_co_u32 v7, vcc_lo, v5, v7
	v_add3_u32 v8, v8, v11, v10
	v_sub_nc_u32_e32 v10, v6, v8
	v_subrev_co_ci_u32_e64 v10, s0, s19, v10, vcc_lo
	v_add_co_u32 v11, s0, v4, 2
	v_add_co_ci_u32_e64 v12, s0, 0, v9, s0
	v_sub_co_u32 v13, s0, v7, s18
	v_sub_co_ci_u32_e32 v8, vcc_lo, v6, v8, vcc_lo
	v_subrev_co_ci_u32_e64 v10, s0, 0, v10, s0
	v_cmp_le_u32_e32 vcc_lo, s18, v13
	v_cmp_eq_u32_e64 s0, s19, v8
	v_cndmask_b32_e64 v13, 0, -1, vcc_lo
	v_cmp_le_u32_e32 vcc_lo, s19, v10
	v_cndmask_b32_e64 v14, 0, -1, vcc_lo
	v_cmp_le_u32_e32 vcc_lo, s18, v7
	;; [unrolled: 2-line block ×3, first 2 shown]
	v_cndmask_b32_e64 v15, 0, -1, vcc_lo
	v_cmp_eq_u32_e32 vcc_lo, s19, v10
	v_cndmask_b32_e64 v7, v15, v7, s0
	v_cndmask_b32_e32 v10, v14, v13, vcc_lo
	v_add_co_u32 v13, vcc_lo, v4, 1
	v_add_co_ci_u32_e32 v14, vcc_lo, 0, v9, vcc_lo
	v_cmp_ne_u32_e32 vcc_lo, 0, v10
	v_cndmask_b32_e32 v8, v14, v12, vcc_lo
	v_cndmask_b32_e32 v10, v13, v11, vcc_lo
	v_cmp_ne_u32_e32 vcc_lo, 0, v7
	v_cndmask_b32_e32 v8, v9, v8, vcc_lo
	v_cndmask_b32_e32 v7, v4, v10, vcc_lo
.LBB0_4:                                ;   in Loop: Header=BB0_2 Depth=1
	s_andn2_saveexec_b32 s0, s1
	s_cbranch_execz .LBB0_6
; %bb.5:                                ;   in Loop: Header=BB0_2 Depth=1
	v_cvt_f32_u32_e32 v4, s18
	s_sub_i32 s1, 0, s18
	v_rcp_iflag_f32_e32 v4, v4
	v_mul_f32_e32 v4, 0x4f7ffffe, v4
	v_cvt_u32_f32_e32 v4, v4
	v_mul_lo_u32 v7, s1, v4
	v_mul_hi_u32 v7, v4, v7
	v_add_nc_u32_e32 v4, v4, v7
	v_mul_hi_u32 v4, v5, v4
	v_mul_lo_u32 v7, v4, s18
	v_add_nc_u32_e32 v8, 1, v4
	v_sub_nc_u32_e32 v7, v5, v7
	v_subrev_nc_u32_e32 v9, s18, v7
	v_cmp_le_u32_e32 vcc_lo, s18, v7
	v_cndmask_b32_e32 v7, v7, v9, vcc_lo
	v_cndmask_b32_e32 v4, v4, v8, vcc_lo
	v_cmp_le_u32_e32 vcc_lo, s18, v7
	v_add_nc_u32_e32 v8, 1, v4
	v_cndmask_b32_e32 v7, v4, v8, vcc_lo
	v_mov_b32_e32 v8, v3
.LBB0_6:                                ;   in Loop: Header=BB0_2 Depth=1
	s_or_b32 exec_lo, exec_lo, s0
	s_load_dwordx2 s[0:1], s[6:7], 0x0
	v_mul_lo_u32 v4, v8, s18
	v_mul_lo_u32 v11, v7, s19
	v_mad_u64_u32 v[9:10], null, v7, s18, 0
	s_add_u32 s16, s16, 1
	s_addc_u32 s17, s17, 0
	s_add_u32 s6, s6, 8
	s_addc_u32 s7, s7, 0
	;; [unrolled: 2-line block ×3, first 2 shown]
	v_add3_u32 v4, v10, v11, v4
	v_sub_co_u32 v5, vcc_lo, v5, v9
	v_sub_co_ci_u32_e32 v4, vcc_lo, v6, v4, vcc_lo
	s_waitcnt lgkmcnt(0)
	v_mul_lo_u32 v6, s1, v5
	v_mul_lo_u32 v4, s0, v4
	v_mad_u64_u32 v[1:2], null, s0, v5, v[1:2]
	v_cmp_ge_u64_e64 s0, s[16:17], s[10:11]
	s_and_b32 vcc_lo, exec_lo, s0
	v_add3_u32 v2, v6, v2, v4
	s_cbranch_vccnz .LBB0_9
; %bb.7:                                ;   in Loop: Header=BB0_2 Depth=1
	v_mov_b32_e32 v5, v7
	v_mov_b32_e32 v6, v8
	s_branch .LBB0_2
.LBB0_8:
	v_mov_b32_e32 v8, v6
	v_mov_b32_e32 v7, v5
.LBB0_9:
	s_lshl_b64 s[0:1], s[10:11], 3
	v_mul_hi_u32 v3, 0x4ec4ec5, v0
	s_add_u32 s0, s12, s0
	s_addc_u32 s1, s13, s1
	s_load_dwordx2 s[4:5], s[4:5], 0x20
	s_load_dwordx2 s[0:1], s[0:1], 0x0
	v_mul_u32_u24_e32 v3, 52, v3
	v_sub_nc_u32_e32 v72, v0, v3
	v_add_nc_u32_e32 v76, 52, v72
	v_add_nc_u32_e32 v88, 0x68, v72
	;; [unrolled: 1-line block ×5, first 2 shown]
	s_waitcnt lgkmcnt(0)
	v_cmp_gt_u64_e32 vcc_lo, s[4:5], v[7:8]
	v_mul_lo_u32 v3, s0, v8
	v_mul_lo_u32 v4, s1, v7
	v_mad_u64_u32 v[0:1], null, s0, v7, v[1:2]
	v_cmp_le_u64_e64 s0, s[4:5], v[7:8]
	v_add_nc_u32_e32 v84, 0x138, v72
	v_add_nc_u32_e32 v83, 0x16c, v72
	;; [unrolled: 1-line block ×5, first 2 shown]
	v_add3_u32 v1, v4, v1, v3
	s_and_saveexec_b32 s1, s0
	s_xor_b32 s0, exec_lo, s1
; %bb.10:
	v_add_nc_u32_e32 v76, 52, v72
	v_add_nc_u32_e32 v88, 0x68, v72
	;; [unrolled: 1-line block ×10, first 2 shown]
; %bb.11:
	s_or_saveexec_b32 s1, s0
	v_lshlrev_b64 v[78:79], 3, v[0:1]
	v_or_b32_e32 v74, 0x340, v72
	s_xor_b32 exec_lo, exec_lo, s1
	s_cbranch_execz .LBB0_13
; %bb.12:
	v_mov_b32_e32 v73, 0
	v_add_co_u32 v38, s0, s2, v78
	v_add_co_ci_u32_e64 v39, s0, s3, v79, s0
	v_lshlrev_b64 v[0:1], 3, v[72:73]
	v_mov_b32_e32 v75, v73
	v_lshl_add_u32 v42, v72, 3, 0
	v_lshlrev_b64 v[30:31], 3, v[74:75]
	v_add_co_u32 v0, s0, v38, v0
	v_add_co_ci_u32_e64 v1, s0, v39, v1, s0
	v_add_nc_u32_e32 v43, 0x400, v42
	v_add_co_u32 v10, s0, 0x800, v0
	v_add_co_ci_u32_e64 v11, s0, 0, v1, s0
	v_add_co_u32 v12, s0, 0x1000, v0
	v_add_co_ci_u32_e64 v13, s0, 0, v1, s0
	v_add_co_u32 v28, s0, 0x1800, v0
	v_add_co_ci_u32_e64 v29, s0, 0, v1, s0
	v_add_co_u32 v30, s0, v38, v30
	v_add_co_ci_u32_e64 v31, s0, v39, v31, s0
	s_clause 0xb
	global_load_dwordx2 v[2:3], v[0:1], off
	global_load_dwordx2 v[4:5], v[0:1], off offset:416
	global_load_dwordx2 v[6:7], v[0:1], off offset:832
	;; [unrolled: 1-line block ×11, first 2 shown]
	v_add_co_u32 v0, s0, 0x2000, v0
	v_add_co_ci_u32_e64 v1, s0, 0, v1, s0
	s_clause 0x8
	global_load_dwordx2 v[32:33], v[12:13], off offset:896
	global_load_dwordx2 v[34:35], v[12:13], off offset:1312
	;; [unrolled: 1-line block ×6, first 2 shown]
	global_load_dwordx2 v[30:31], v[30:31], off
	global_load_dwordx2 v[28:29], v[28:29], off offset:1760
	global_load_dwordx2 v[0:1], v[0:1], off offset:128
	v_add_nc_u32_e32 v44, 0x800, v42
	v_add_nc_u32_e32 v45, 0x1000, v42
	v_add_nc_u32_e32 v46, 0x1400, v42
	v_add_nc_u32_e32 v47, 0x1800, v42
	s_waitcnt vmcnt(19)
	ds_write2_b64 v42, v[2:3], v[4:5] offset1:52
	s_waitcnt vmcnt(17)
	ds_write2_b64 v42, v[6:7], v[8:9] offset0:104 offset1:156
	s_waitcnt vmcnt(15)
	ds_write2_b64 v43, v[14:15], v[16:17] offset0:80 offset1:132
	;; [unrolled: 2-line block ×9, first 2 shown]
	s_waitcnt vmcnt(0)
	ds_write_b64 v42, v[0:1] offset:8320
.LBB0_13:
	s_or_b32 exec_lo, exec_lo, s1
	v_lshlrev_b32_e32 v73, 3, v72
	s_waitcnt lgkmcnt(0)
	s_barrier
	buffer_gl0_inv
	v_lshl_add_u32 v47, v76, 4, 0
	v_add_nc_u32_e32 v104, 0, v73
	v_lshl_add_u32 v48, v88, 4, 0
	v_lshl_add_u32 v110, v85, 4, 0
	;; [unrolled: 1-line block ×4, first 2 shown]
	v_add_nc_u32_e32 v0, 0x1000, v104
	v_add_nc_u32_e32 v22, 0x400, v104
	;; [unrolled: 1-line block ×4, first 2 shown]
	ds_read2_b64 v[2:5], v104 offset1:52
	ds_read2_b64 v[6:9], v0 offset0:8 offset1:34
	ds_read2_b64 v[10:13], v0 offset0:86 offset1:138
	;; [unrolled: 1-line block ×4, first 2 shown]
	v_add_nc_u32_e32 v1, 0x1800, v104
	ds_read2_b64 v[22:25], v22 offset0:80 offset1:132
	ds_read2_b64 v[26:29], v30 offset0:56 offset1:108
	;; [unrolled: 1-line block ×6, first 2 shown]
	v_add_nc_u32_e32 v49, v104, v73
	s_waitcnt lgkmcnt(0)
	s_barrier
	buffer_gl0_inv
	v_lshl_add_u32 v75, v82, 4, 0
	v_lshl_add_u32 v92, v81, 4, 0
	v_cmp_gt_u32_e64 s0, 26, v72
	v_sub_f32_e32 v8, v2, v8
	v_sub_f32_e32 v9, v3, v9
	;; [unrolled: 1-line block ×6, first 2 shown]
	v_fma_f32 v2, v2, 2.0, -v8
	v_fma_f32 v3, v3, 2.0, -v9
	;; [unrolled: 1-line block ×6, first 2 shown]
	v_sub_f32_e32 v46, v22, v20
	ds_write2_b64 v49, v[2:3], v[8:9] offset1:1
	ds_write2_b64 v47, v[4:5], v[10:11] offset1:1
	ds_write2_b64 v48, v[14:15], v[12:13] offset1:1
	v_sub_f32_e32 v47, v23, v21
	v_sub_f32_e32 v10, v26, v40
	;; [unrolled: 1-line block ×9, first 2 shown]
	v_fma_f32 v4, v22, 2.0, -v46
	v_fma_f32 v5, v23, 2.0, -v47
	v_sub_f32_e32 v22, v6, v36
	v_sub_f32_e32 v23, v7, v37
	v_fma_f32 v14, v26, 2.0, -v10
	v_fma_f32 v15, v27, 2.0, -v11
	v_sub_f32_e32 v26, v30, v44
	v_sub_f32_e32 v27, v31, v45
	v_fma_f32 v8, v24, 2.0, -v2
	v_fma_f32 v9, v25, 2.0, -v3
	;; [unrolled: 1-line block ×4, first 2 shown]
	v_sub_f32_e32 v28, v32, v34
	v_sub_f32_e32 v29, v33, v35
	v_fma_f32 v16, v16, 2.0, -v18
	v_fma_f32 v17, v17, 2.0, -v19
	v_lshl_add_u32 v34, v87, 4, 0
	v_fma_f32 v20, v6, 2.0, -v22
	v_fma_f32 v21, v7, 2.0, -v23
	v_lshl_add_u32 v35, v86, 4, 0
	v_fma_f32 v30, v30, 2.0, -v26
	v_fma_f32 v31, v31, 2.0, -v27
	;; [unrolled: 1-line block ×4, first 2 shown]
	ds_write2_b64 v34, v[16:17], v[18:19] offset1:1
	ds_write2_b64 v35, v[4:5], v[46:47] offset1:1
	;; [unrolled: 1-line block ×7, first 2 shown]
	s_and_saveexec_b32 s1, s0
	s_cbranch_execz .LBB0_15
; %bb.14:
	v_lshl_add_u32 v2, v80, 4, 0
	ds_write2_b64 v2, v[20:21], v[22:23] offset1:1
.LBB0_15:
	s_or_b32 exec_lo, exec_lo, s1
	v_lshlrev_b32_e32 v98, 3, v85
	v_lshlrev_b32_e32 v113, 3, v84
	v_lshlrev_b32_e32 v114, 3, v83
	v_lshlrev_b32_e32 v77, 3, v82
	v_lshlrev_b32_e32 v115, 3, v81
	v_lshl_add_u32 v106, v86, 3, 0
	v_sub_nc_u32_e32 v3, v110, v98
	v_sub_nc_u32_e32 v4, v90, v113
	;; [unrolled: 1-line block ×3, first 2 shown]
	v_add_nc_u32_e32 v2, 0x1400, v104
	v_sub_nc_u32_e32 v6, v75, v77
	v_sub_nc_u32_e32 v7, v92, v115
	s_waitcnt lgkmcnt(0)
	s_barrier
	buffer_gl0_inv
	v_lshl_add_u32 v109, v76, 3, 0
	v_lshl_add_u32 v108, v88, 3, 0
	;; [unrolled: 1-line block ×3, first 2 shown]
	ds_read_b64 v[34:35], v106
	ds_read_b64 v[32:33], v3
	;; [unrolled: 1-line block ×10, first 2 shown]
	ds_read2_b64 v[16:19], v0 offset0:34 offset1:86
	ds_read2_b64 v[12:15], v0 offset0:138 offset1:190
	;; [unrolled: 1-line block ×5, first 2 shown]
	v_lshlrev_b32_e32 v99, 1, v76
	v_lshlrev_b32_e32 v97, 1, v88
	;; [unrolled: 1-line block ×6, first 2 shown]
	v_lshl_add_u32 v105, v80, 3, 0
	v_lshlrev_b32_e32 v94, 1, v86
	v_lshlrev_b32_e32 v93, 1, v85
	;; [unrolled: 1-line block ×3, first 2 shown]
	s_and_saveexec_b32 s1, s0
	s_cbranch_execz .LBB0_17
; %bb.16:
	ds_read_b64 v[20:21], v105
	ds_read_b64 v[22:23], v104 offset:8528
.LBB0_17:
	s_or_b32 exec_lo, exec_lo, s1
	v_and_b32_e32 v44, 1, v72
	v_lshlrev_b32_e32 v89, 1, v72
	v_lshlrev_b32_e32 v48, 3, v44
	v_and_or_b32 v50, 0x7c, v89, v44
	v_and_or_b32 v47, 0x3fc, v47, v44
	;; [unrolled: 1-line block ×4, first 2 shown]
	global_load_dwordx2 v[48:49], v48, s[8:9]
	v_lshl_add_u32 v57, v50, 3, 0
	v_lshl_add_u32 v58, v47, 3, 0
	;; [unrolled: 1-line block ×4, first 2 shown]
	v_and_or_b32 v51, 0xfc, v99, v44
	v_and_or_b32 v52, 0x1fc, v97, v44
	;; [unrolled: 1-line block ×6, first 2 shown]
	v_lshl_add_u32 v51, v51, 3, 0
	v_lshl_add_u32 v52, v52, 3, 0
	;; [unrolled: 1-line block ×4, first 2 shown]
	s_waitcnt vmcnt(0) lgkmcnt(0)
	s_barrier
	buffer_gl0_inv
	v_lshl_add_u32 v55, v55, 3, 0
	v_lshl_add_u32 v56, v56, 3, 0
	v_mul_f32_e32 v45, v49, v17
	v_mul_f32_e32 v46, v49, v16
	;; [unrolled: 1-line block ×22, first 2 shown]
	v_fmac_f32_e32 v45, v48, v16
	v_fma_f32 v17, v48, v17, -v46
	v_fmac_f32_e32 v69, v48, v4
	v_fma_f32 v4, v48, v5, -v70
	;; [unrolled: 2-line block ×11, first 2 shown]
	v_sub_f32_e32 v16, v42, v45
	v_sub_f32_e32 v17, v43, v17
	;; [unrolled: 1-line block ×22, first 2 shown]
	v_fma_f32 v42, v42, 2.0, -v16
	v_fma_f32 v43, v43, 2.0, -v17
	;; [unrolled: 1-line block ×22, first 2 shown]
	ds_write2_b64 v57, v[42:43], v[16:17] offset1:2
	ds_write2_b64 v51, v[40:41], v[18:19] offset1:2
	;; [unrolled: 1-line block ×10, first 2 shown]
	s_and_saveexec_b32 s1, s0
	s_cbranch_execz .LBB0_19
; %bb.18:
	v_lshlrev_b32_e32 v16, 1, v80
	v_and_or_b32 v16, 0x47c, v16, v44
	v_lshl_add_u32 v16, v16, 3, 0
	ds_write2_b64 v16, v[4:5], v[6:7] offset1:2
.LBB0_19:
	s_or_b32 exec_lo, exec_lo, s1
	v_add_nc_u32_e32 v16, 0x800, v104
	v_add_nc_u32_e32 v17, 0xc00, v104
	;; [unrolled: 1-line block ×4, first 2 shown]
	s_waitcnt lgkmcnt(0)
	s_barrier
	buffer_gl0_inv
	ds_read2_b64 v[48:51], v104 offset1:84
	ds_read2_b64 v[68:71], v104 offset0:168 offset1:252
	ds_read2_b64 v[64:67], v16 offset0:80 offset1:164
	;; [unrolled: 1-line block ×5, first 2 shown]
	ds_read_b64 v[102:103], v104 offset:8064
	v_cmp_gt_u32_e64 s1, 32, v72
                                        ; implicit-def: $vgpr31
                                        ; implicit-def: $vgpr19
	s_and_saveexec_b32 s4, s1
	s_cbranch_execz .LBB0_21
; %bb.20:
	v_add_nc_u32_e32 v21, 0x1c00, v104
	ds_read_b64 v[100:101], v109
	ds_read2_b64 v[12:15], v104 offset0:136 offset1:220
	ds_read2_b64 v[8:11], v16 offset0:48 offset1:132
	;; [unrolled: 1-line block ×6, first 2 shown]
.LBB0_21:
	s_or_b32 exec_lo, exec_lo, s4
	v_and_b32_e32 v96, 3, v72
	v_sub_nc_u32_e32 v112, 0, v98
	v_sub_nc_u32_e32 v98, 0, v113
	;; [unrolled: 1-line block ×4, first 2 shown]
	v_mul_u32_u24_e32 v20, 12, v96
	v_lshlrev_b32_e32 v44, 3, v20
	s_clause 0x5
	global_load_dwordx4 v[36:39], v44, s[8:9] offset:16
	global_load_dwordx4 v[32:35], v44, s[8:9] offset:32
	global_load_dwordx4 v[20:23], v44, s[8:9] offset:48
	global_load_dwordx4 v[24:27], v44, s[8:9] offset:64
	global_load_dwordx4 v[40:43], v44, s[8:9] offset:80
	global_load_dwordx4 v[44:47], v44, s[8:9] offset:96
	s_waitcnt vmcnt(0) lgkmcnt(0)
	s_barrier
	buffer_gl0_inv
	v_mul_f32_e32 v115, v37, v51
	v_mul_f32_e32 v116, v37, v50
	;; [unrolled: 1-line block ×10, first 2 shown]
	v_fmac_f32_e32 v115, v36, v50
	v_fma_f32 v50, v36, v51, -v116
	v_mul_f32_e32 v119, v33, v71
	v_mul_f32_e32 v120, v33, v70
	;; [unrolled: 1-line block ×8, first 2 shown]
	v_fma_f32 v51, v38, v69, -v118
	v_fmac_f32_e32 v131, v58, v40
	v_fmac_f32_e32 v133, v52, v42
	v_fma_f32 v52, v53, v42, -v134
	v_fmac_f32_e32 v135, v54, v44
	v_fma_f32 v53, v103, v46, -v138
	v_fma_f32 v54, v55, v44, -v136
	v_add_f32_e32 v58, v50, v49
	v_mul_f32_e32 v123, v21, v67
	v_mul_f32_e32 v125, v23, v61
	;; [unrolled: 1-line block ×4, first 2 shown]
	v_fmac_f32_e32 v117, v38, v68
	v_fmac_f32_e32 v119, v32, v70
	v_fma_f32 v68, v32, v71, -v120
	v_fmac_f32_e32 v121, v34, v64
	v_fma_f32 v64, v34, v65, -v122
	v_fma_f32 v65, v20, v67, -v124
	v_fmac_f32_e32 v127, v24, v62
	v_fmac_f32_e32 v137, v102, v46
	v_add_f32_e32 v55, v115, v48
	v_add_f32_e32 v62, v50, v53
	;; [unrolled: 1-line block ×3, first 2 shown]
	v_sub_f32_e32 v70, v51, v54
	v_add_f32_e32 v51, v58, v51
	v_mul_f32_e32 v129, v27, v57
	v_mul_f32_e32 v130, v27, v56
	v_fmac_f32_e32 v123, v20, v66
	v_fmac_f32_e32 v125, v22, v60
	v_fma_f32 v60, v22, v61, -v126
	v_fma_f32 v61, v24, v63, -v128
	v_sub_f32_e32 v63, v115, v137
	v_sub_f32_e32 v50, v50, v53
	v_add_f32_e32 v66, v117, v135
	v_sub_f32_e32 v69, v117, v135
	v_add_f32_e32 v55, v55, v117
	v_mul_f32_e32 v117, 0x3f62ad3f, v62
	v_mul_f32_e32 v136, 0x3f116cb1, v62
	v_mul_f32_e32 v139, 0x3df6dbef, v62
	v_mul_f32_e32 v141, 0xbeb58ec6, v62
	v_mul_f32_e32 v143, 0xbf3f9e67, v62
	v_mul_f32_e32 v62, 0xbf788fa5, v62
	v_add_f32_e32 v51, v51, v68
	v_fmac_f32_e32 v129, v26, v56
	v_fma_f32 v56, v26, v57, -v130
	v_fma_f32 v57, v59, v40, -v132
	v_add_f32_e32 v59, v115, v137
	v_add_f32_e32 v71, v119, v133
	;; [unrolled: 1-line block ×3, first 2 shown]
	v_sub_f32_e32 v103, v119, v133
	v_sub_f32_e32 v115, v68, v52
	v_mul_f32_e32 v58, 0xbeedf032, v50
	v_mul_f32_e32 v134, 0xbf52af12, v50
	;; [unrolled: 1-line block ×11, first 2 shown]
	v_add_f32_e32 v55, v55, v119
	v_fmamk_f32 v119, v63, 0x3eedf032, v117
	v_fmac_f32_e32 v117, 0xbeedf032, v63
	v_fmamk_f32 v185, v63, 0x3f52af12, v136
	v_fmac_f32_e32 v136, 0xbf52af12, v63
	;; [unrolled: 2-line block ×6, first 2 shown]
	v_add_f32_e32 v51, v51, v64
	v_add_f32_e32 v120, v64, v57
	v_mul_f32_e32 v50, 0xbe750f2a, v50
	v_mul_f32_e32 v144, 0xbf52af12, v70
	;; [unrolled: 1-line block ×18, first 2 shown]
	v_fmamk_f32 v68, v59, 0x3f62ad3f, v58
	v_fmamk_f32 v184, v59, 0x3f116cb1, v134
	v_fma_f32 v134, 0x3f116cb1, v59, -v134
	v_fmamk_f32 v186, v59, 0x3df6dbef, v138
	v_fma_f32 v138, 0x3df6dbef, v59, -v138
	;; [unrolled: 2-line block ×4, first 2 shown]
	v_fmamk_f32 v203, v69, 0xbeedf032, v67
	v_fmac_f32_e32 v67, 0x3eedf032, v69
	v_add_f32_e32 v119, v119, v49
	v_add_f32_e32 v117, v117, v49
	;; [unrolled: 1-line block ×13, first 2 shown]
	v_sub_f32_e32 v116, v64, v57
	v_sub_f32_e32 v122, v121, v131
	v_mul_f32_e32 v70, 0x3eedf032, v70
	v_mul_f32_e32 v169, 0xbeb58ec6, v120
	;; [unrolled: 1-line block ×7, first 2 shown]
	v_fma_f32 v58, 0x3f62ad3f, v59, -v58
	v_fmamk_f32 v192, v59, 0xbf788fa5, v50
	v_fma_f32 v50, 0xbf788fa5, v59, -v50
	v_fmamk_f32 v59, v66, 0x3f116cb1, v144
	v_fmamk_f32 v63, v69, 0x3f52af12, v145
	v_fmac_f32_e32 v145, 0xbf52af12, v69
	v_fmamk_f32 v194, v66, 0xbeb58ec6, v146
	v_fmamk_f32 v195, v69, 0x3f6f5d39, v147
	v_fma_f32 v146, 0xbeb58ec6, v66, -v146
	v_fmac_f32_e32 v147, 0xbf6f5d39, v69
	v_fmamk_f32 v196, v66, 0xbf788fa5, v148
	v_fmamk_f32 v197, v69, 0x3e750f2a, v149
	v_fma_f32 v148, 0xbf788fa5, v66, -v148
	;; [unrolled: 4-line block ×4, first 2 shown]
	v_fmac_f32_e32 v153, 0x3f7e222b, v69
	v_fmamk_f32 v69, v71, 0x3df6dbef, v154
	v_fma_f32 v154, 0x3df6dbef, v71, -v154
	v_fmamk_f32 v204, v71, 0xbf788fa5, v156
	v_fma_f32 v156, 0xbf788fa5, v71, -v156
	;; [unrolled: 2-line block ×6, first 2 shown]
	v_fmamk_f32 v115, v103, 0x3f29c268, v102
	v_fmac_f32_e32 v102, 0xbf29c268, v103
	v_add_f32_e32 v68, v68, v48
	v_add_f32_e32 v134, v134, v48
	;; [unrolled: 1-line block ×10, first 2 shown]
	v_sub_f32_e32 v128, v65, v56
	v_mul_f32_e32 v164, 0xbf6f5d39, v116
	v_mul_f32_e32 v165, 0x3f29c268, v116
	;; [unrolled: 1-line block ×6, first 2 shown]
	v_fma_f32 v144, 0x3f116cb1, v66, -v144
	v_fmamk_f32 v202, v66, 0x3f62ad3f, v70
	v_fma_f32 v66, 0x3f62ad3f, v66, -v70
	v_fmamk_f32 v70, v103, 0x3f7e222b, v155
	v_fmac_f32_e32 v155, 0xbf7e222b, v103
	v_fmamk_f32 v205, v103, 0x3e750f2a, v157
	v_fmac_f32_e32 v157, 0xbe750f2a, v103
	v_fmamk_f32 v207, v103, 0xbf6f5d39, v159
	v_fmamk_f32 v209, v103, 0xbeedf032, v161
	v_fmac_f32_e32 v161, 0x3eedf032, v103
	v_fmamk_f32 v222, v122, 0xbf52af12, v120
	v_fmac_f32_e32 v120, 0x3f52af12, v122
	v_add_f32_e32 v58, v58, v48
	v_add_f32_e32 v184, v184, v48
	;; [unrolled: 1-line block ×20, first 2 shown]
	v_sub_f32_e32 v130, v123, v129
	v_mul_f32_e32 v175, 0xbf3f9e67, v126
	v_mul_f32_e32 v176, 0x3f7e222b, v128
	;; [unrolled: 1-line block ×6, first 2 shown]
	v_fmac_f32_e32 v159, 0x3f6f5d39, v103
	v_fmamk_f32 v211, v103, 0x3f52af12, v163
	v_fmac_f32_e32 v163, 0xbf52af12, v103
	v_fmamk_f32 v103, v118, 0xbeb58ec6, v164
	v_fma_f32 v164, 0xbeb58ec6, v118, -v164
	v_fmamk_f32 v213, v118, 0xbf3f9e67, v165
	v_fma_f32 v165, 0xbf3f9e67, v118, -v165
	;; [unrolled: 2-line block ×6, first 2 shown]
	v_fmamk_f32 v118, v122, 0x3f6f5d39, v169
	v_fmac_f32_e32 v169, 0xbf6f5d39, v122
	v_fmamk_f32 v219, v122, 0xbeedf032, v171
	v_fmamk_f32 v220, v122, 0x3f7e222b, v172
	v_fmac_f32_e32 v172, 0xbf7e222b, v122
	v_add_f32_e32 v48, v66, v48
	v_add_f32_e32 v50, v50, v123
	;; [unrolled: 1-line block ×13, first 2 shown]
	v_sub_f32_e32 v132, v60, v61
	v_mul_f32_e32 v174, 0xbf29c268, v128
	v_fmamk_f32 v223, v130, 0x3f29c268, v175
	v_fmac_f32_e32 v175, 0xbf29c268, v130
	v_fmamk_f32 v224, v124, 0x3df6dbef, v176
	v_fma_f32 v176, 0x3df6dbef, v124, -v176
	v_fmamk_f32 v227, v130, 0x3f52af12, v179
	v_fmamk_f32 v228, v124, 0xbf788fa5, v180
	;; [unrolled: 1-line block ×3, first 2 shown]
	v_fmac_f32_e32 v181, 0x3e750f2a, v130
	v_fmamk_f32 v230, v124, 0x3f62ad3f, v182
	v_fma_f32 v182, 0x3f62ad3f, v124, -v182
	v_add_f32_e32 v59, v63, v119
	v_add_f32_e32 v58, v144, v58
	v_add_f32_e32 v63, v194, v184
	v_add_f32_e32 v119, v196, v186
	v_add_f32_e32 v136, v149, v139
	v_add_f32_e32 v139, v199, v189
	v_add_f32_e32 v144, v200, v190
	v_add_f32_e32 v143, v153, v143
	v_add_f32_e32 v50, v50, v125
	v_add_f32_e32 v48, v71, v48
	v_add_f32_e32 v55, v103, v55
	v_add_f32_e32 v62, v169, v62
	v_add_f32_e32 v65, v165, v65
	v_add_f32_e32 v68, v219, v68
	v_add_f32_e32 v71, v215, v117
	v_add_f32_e32 v103, v167, v121
	v_add_f32_e32 v117, v172, v123
	v_add_f32_e32 v121, v168, v138
	v_add_f32_e32 v49, v49, v57
	v_mul_f32_e32 v177, 0x3df6dbef, v126
	v_mul_f32_e32 v178, 0xbf52af12, v128
	;; [unrolled: 1-line block ×3, first 2 shown]
	v_fmamk_f32 v218, v122, 0xbf29c268, v170
	v_fmac_f32_e32 v170, 0x3f29c268, v122
	v_fmac_f32_e32 v171, 0x3eedf032, v122
	v_fmamk_f32 v221, v122, 0xbe750f2a, v173
	v_fmac_f32_e32 v173, 0x3e750f2a, v122
	v_fmamk_f32 v122, v124, 0xbf3f9e67, v174
	v_add_f32_e32 v64, v195, v185
	v_add_f32_e32 v59, v70, v59
	v_add_f32_e32 v58, v154, v58
	v_add_f32_e32 v63, v204, v63
	v_add_f32_e32 v67, v206, v119
	v_add_f32_e32 v69, v158, v134
	v_add_f32_e32 v119, v209, v139
	v_add_f32_e32 v134, v210, v144
	v_add_f32_e32 v139, v163, v143
	v_add_f32_e32 v50, v50, v127
	v_add_f32_e32 v56, v175, v62
	v_add_f32_e32 v62, v176, v65
	v_add_f32_e32 v65, v227, v68
	v_add_f32_e32 v68, v228, v71
	v_add_f32_e32 v49, v49, v52
	v_add_f32_e32 v71, v181, v117
	v_add_f32_e32 v117, v182, v121
	v_add_f32_e32 v121, v125, v127
	v_mul_f32_e32 v52, 0xbe750f2a, v132
	v_mul_f32_e32 v128, 0xbf6f5d39, v128
	v_fma_f32 v174, 0xbf3f9e67, v124, -v174
	v_fmamk_f32 v225, v130, 0xbf7e222b, v177
	v_fmac_f32_e32 v177, 0x3f7e222b, v130
	v_fmamk_f32 v226, v124, 0x3f116cb1, v178
	v_fma_f32 v178, 0x3f116cb1, v124, -v178
	v_fmamk_f32 v231, v130, 0xbeedf032, v183
	v_fmac_f32_e32 v183, 0x3eedf032, v130
	v_add_f32_e32 v64, v205, v64
	v_add_f32_e32 v59, v118, v59
	;; [unrolled: 1-line block ×14, first 2 shown]
	v_fmamk_f32 v54, v121, 0xbf788fa5, v52
	v_mul_f32_e32 v60, 0x3eedf032, v132
	v_add_f32_e32 v64, v218, v64
	v_add_f32_e32 v55, v174, v58
	;; [unrolled: 1-line block ×9, first 2 shown]
	v_fma_f32 v53, 0xbeb58ec6, v124, -v128
	v_sub_f32_e32 v123, v125, v127
	v_mul_f32_e32 v57, 0xbf788fa5, v122
	v_add_f32_e32 v50, v54, v50
	v_fma_f32 v52, 0xbf788fa5, v121, -v52
	v_mul_f32_e32 v61, 0x3f62ad3f, v122
	v_fmamk_f32 v54, v121, 0x3f62ad3f, v60
	v_fma_f32 v180, 0xbf788fa5, v124, -v180
	v_fmamk_f32 v232, v124, 0xbeb58ec6, v128
	v_add_f32_e32 v70, v159, v136
	v_add_f32_e32 v67, v214, v67
	v_add_f32_e32 v51, v223, v59
	v_add_f32_e32 v59, v225, v64
	v_add_f32_e32 v116, v53, v116
	v_fmamk_f32 v53, v123, 0x3e750f2a, v57
	v_fmac_f32_e32 v57, 0xbe750f2a, v123
	v_add_f32_e32 v52, v52, v55
	v_fmamk_f32 v55, v123, 0xbeedf032, v61
	v_add_f32_e32 v54, v54, v58
	v_mul_f32_e32 v58, 0xbf29c268, v132
	v_fmac_f32_e32 v61, 0x3eedf032, v123
	v_mul_f32_e32 v124, 0xbf3f9e67, v122
	v_fmac_f32_e32 v179, 0xbf52af12, v130
	v_add_f32_e32 v145, v201, v191
	v_add_f32_e32 v70, v171, v70
	;; [unrolled: 1-line block ×5, first 2 shown]
	v_fma_f32 v56, 0x3f62ad3f, v121, -v60
	v_add_f32_e32 v55, v55, v59
	v_fmamk_f32 v59, v121, 0xbf3f9e67, v58
	v_add_f32_e32 v57, v61, v63
	v_mul_f32_e32 v63, 0x3f52af12, v132
	v_fmamk_f32 v60, v123, 0x3f29c268, v124
	v_add_f32_e32 v136, v211, v145
	v_add_f32_e32 v67, v179, v70
	;; [unrolled: 1-line block ×3, first 2 shown]
	v_fma_f32 v61, 0xbf3f9e67, v121, -v58
	v_add_f32_e32 v58, v59, v64
	v_fmac_f32_e32 v124, 0xbf29c268, v123
	v_fmamk_f32 v62, v121, 0x3f116cb1, v63
	v_add_f32_e32 v59, v60, v65
	v_mul_f32_e32 v65, 0x3f116cb1, v122
	v_add_f32_e32 v147, v203, v193
	v_add_f32_e32 v119, v221, v136
	;; [unrolled: 1-line block ×5, first 2 shown]
	v_mul_f32_e32 v68, 0xbf6f5d39, v132
	v_mul_f32_e32 v124, 0xbeb58ec6, v122
	v_fmamk_f32 v64, v123, 0xbf52af12, v65
	v_add_f32_e32 v146, v202, v192
	v_mul_f32_e32 v126, 0xbeb58ec6, v126
	v_add_f32_e32 v115, v115, v147
	v_add_f32_e32 v48, v48, v131
	;; [unrolled: 1-line block ×4, first 2 shown]
	v_fma_f32 v66, 0x3f116cb1, v121, -v63
	v_fmac_f32_e32 v65, 0x3f52af12, v123
	v_fmamk_f32 v67, v121, 0xbeb58ec6, v68
	v_fmamk_f32 v125, v123, 0x3f6f5d39, v124
	v_add_f32_e32 v63, v64, v69
	v_lshrrev_b32_e32 v69, 2, v72
	v_add_f32_e32 v140, v212, v146
	v_fmamk_f32 v233, v130, 0x3f6f5d39, v126
	v_add_f32_e32 v115, v222, v115
	v_add_f32_e32 v48, v48, v133
	;; [unrolled: 1-line block ×6, first 2 shown]
	v_fma_f32 v68, 0xbeb58ec6, v121, -v68
	v_fmac_f32_e32 v124, 0xbf6f5d39, v123
	v_mul_f32_e32 v70, 0x3f7e222b, v132
	v_mul_f32_e32 v103, 0x3df6dbef, v122
	v_mul_u32_u24_e32 v71, 52, v69
	v_add_f32_e32 v134, v217, v140
	v_fmac_f32_e32 v126, 0xbf6f5d39, v130
	v_add_f32_e32 v48, v48, v135
	v_add_f32_e32 v115, v233, v115
	;; [unrolled: 1-line block ×4, first 2 shown]
	v_fmamk_f32 v102, v121, 0x3df6dbef, v70
	v_fmamk_f32 v117, v123, 0xbf7e222b, v103
	v_fma_f32 v118, 0x3df6dbef, v121, -v70
	v_or_b32_e32 v121, v71, v96
	v_add_f32_e32 v119, v232, v134
	v_add_f32_e32 v120, v126, v120
	v_fmac_f32_e32 v103, 0x3f7e222b, v123
	v_add_f32_e32 v48, v48, v137
	v_add_f32_e32 v71, v117, v115
	v_lshl_add_u32 v115, v121, 3, 0
	v_add_f32_e32 v70, v102, v119
	v_add_f32_e32 v102, v118, v116
	v_add_f32_e32 v103, v103, v120
	ds_write2_b64 v115, v[48:49], v[50:51] offset1:4
	ds_write2_b64 v115, v[54:55], v[58:59] offset0:8 offset1:12
	ds_write2_b64 v115, v[62:63], v[66:67] offset0:16 offset1:20
	;; [unrolled: 1-line block ×5, first 2 shown]
	ds_write_b64 v115, v[52:53] offset:384
	s_and_saveexec_b32 s4, s1
	s_cbranch_execz .LBB0_23
; %bb.22:
	v_mul_f32_e32 v49, v13, v37
	v_mul_f32_e32 v48, v31, v47
	;; [unrolled: 1-line block ×5, first 2 shown]
	v_fmac_f32_e32 v49, v12, v36
	v_fmac_f32_e32 v48, v30, v46
	v_mul_f32_e32 v30, v29, v45
	v_fma_f32 v31, v31, v46, -v47
	v_fma_f32 v36, v13, v36, -v50
	v_mul_f32_e32 v45, v28, v45
	v_sub_f32_e32 v13, v49, v48
	v_fmac_f32_e32 v37, v14, v38
	v_fmac_f32_e32 v30, v28, v44
	v_mul_f32_e32 v14, v14, v39
	v_add_f32_e32 v46, v36, v31
	v_mul_f32_e32 v47, 0xbe750f2a, v13
	v_mul_f32_e32 v39, v9, v33
	;; [unrolled: 1-line block ×3, first 2 shown]
	v_sub_f32_e32 v12, v37, v30
	v_fma_f32 v29, v29, v44, -v45
	v_fma_f32 v38, v15, v38, -v14
	v_fmamk_f32 v50, v46, 0xbf788fa5, v47
	v_fmac_f32_e32 v39, v8, v32
	v_fmac_f32_e32 v28, v18, v42
	v_mul_f32_e32 v14, v18, v43
	v_mul_f32_e32 v15, v8, v33
	;; [unrolled: 1-line block ×3, first 2 shown]
	v_add_f32_e32 v43, v38, v29
	v_mul_f32_e32 v44, v11, v35
	v_mul_f32_e32 v45, v17, v41
	v_sub_f32_e32 v8, v39, v28
	v_fma_f32 v18, v19, v42, -v14
	v_fma_f32 v32, v9, v32, -v15
	v_add_f32_e32 v9, v101, v50
	v_fmamk_f32 v14, v43, 0x3f62ad3f, v33
	v_fmac_f32_e32 v44, v10, v34
	v_fmac_f32_e32 v45, v16, v40
	v_mul_f32_e32 v16, v16, v41
	v_mul_f32_e32 v10, v10, v35
	;; [unrolled: 1-line block ×5, first 2 shown]
	v_add_f32_e32 v42, v32, v18
	v_add_f32_e32 v14, v14, v9
	v_sub_f32_e32 v9, v44, v45
	v_fma_f32 v40, v17, v40, -v16
	v_fma_f32 v34, v11, v34, -v10
	v_fmac_f32_e32 v35, v0, v20
	v_fmac_f32_e32 v41, v6, v26
	v_mul_f32_e32 v10, v6, v27
	v_mul_f32_e32 v0, v0, v21
	v_fmamk_f32 v15, v42, 0xbf3f9e67, v19
	v_mul_f32_e32 v21, 0x3f52af12, v9
	v_add_f32_e32 v27, v34, v40
	v_sub_f32_e32 v6, v35, v41
	v_fma_f32 v50, v7, v26, -v10
	v_fma_f32 v26, v1, v20, -v0
	v_add_f32_e32 v0, v15, v14
	v_fmamk_f32 v1, v27, 0x3f116cb1, v21
	v_mul_f32_e32 v20, 0xbf6f5d39, v6
	v_mul_f32_e32 v52, v3, v23
	v_add_f32_e32 v51, v26, v50
	v_mul_f32_e32 v53, v5, v25
	v_add_f32_e32 v0, v1, v0
	v_sub_f32_e32 v54, v36, v31
	v_fmac_f32_e32 v52, v2, v22
	v_fmamk_f32 v1, v51, 0xbeb58ec6, v20
	v_fmac_f32_e32 v53, v4, v24
	v_add_f32_e32 v10, v49, v48
	v_mul_f32_e32 v55, 0xbe750f2a, v54
	v_sub_f32_e32 v56, v38, v29
	v_add_f32_e32 v0, v1, v0
	v_mul_f32_e32 v1, v4, v25
	v_mul_f32_e32 v2, v2, v23
	v_sub_f32_e32 v7, v52, v53
	v_fma_f32 v4, 0xbf788fa5, v10, -v55
	v_add_f32_e32 v11, v37, v30
	v_mul_f32_e32 v23, 0x3eedf032, v56
	v_fma_f32 v25, v5, v24, -v1
	v_sub_f32_e32 v57, v32, v18
	v_fma_f32 v58, v3, v22, -v2
	v_add_f32_e32 v1, v100, v4
	v_fma_f32 v2, 0x3f62ad3f, v11, -v23
	v_add_f32_e32 v15, v39, v28
	v_mul_f32_e32 v3, 0xbf29c268, v57
	v_mul_f32_e32 v4, 0x3f7e222b, v7
	v_sub_f32_e32 v59, v34, v40
	v_add_f32_e32 v60, v58, v25
	v_add_f32_e32 v1, v2, v1
	v_fma_f32 v2, 0xbf3f9e67, v15, -v3
	v_add_f32_e32 v14, v44, v45
	v_mul_f32_e32 v5, 0x3f52af12, v59
	v_fmamk_f32 v17, v60, 0x3df6dbef, v4
	v_sub_f32_e32 v61, v26, v50
	v_fma_f32 v22, 0xbf788fa5, v46, -v47
	v_add_f32_e32 v2, v2, v1
	v_fma_f32 v24, 0x3f116cb1, v14, -v5
	v_add_f32_e32 v16, v35, v41
	v_mul_f32_e32 v47, 0xbf6f5d39, v61
	v_add_f32_e32 v1, v17, v0
	v_add_f32_e32 v0, v101, v22
	v_fma_f32 v17, 0x3f62ad3f, v43, -v33
	v_sub_f32_e32 v33, v58, v25
	v_fmac_f32_e32 v55, 0xbf788fa5, v10
	v_add_f32_e32 v2, v24, v2
	v_fma_f32 v22, 0xbeb58ec6, v16, -v47
	v_add_f32_e32 v0, v17, v0
	v_fma_f32 v19, 0xbf3f9e67, v42, -v19
	v_add_f32_e32 v17, v52, v53
	v_mul_f32_e32 v24, 0x3f7e222b, v33
	v_add_f32_e32 v55, v100, v55
	v_fmac_f32_e32 v23, 0x3f62ad3f, v11
	v_add_f32_e32 v0, v19, v0
	v_fma_f32 v19, 0x3f116cb1, v27, -v21
	v_add_f32_e32 v2, v22, v2
	v_fma_f32 v21, 0x3df6dbef, v17, -v24
	v_add_f32_e32 v22, v23, v55
	v_fmac_f32_e32 v3, 0xbf3f9e67, v15
	v_add_f32_e32 v19, v19, v0
	v_fma_f32 v20, 0xbeb58ec6, v51, -v20
	v_mul_f32_e32 v55, 0xbf3f9e67, v46
	v_add_f32_e32 v0, v21, v2
	v_add_f32_e32 v2, v3, v22
	v_fmac_f32_e32 v5, 0x3f116cb1, v14
	v_add_f32_e32 v3, v20, v19
	v_fmamk_f32 v19, v13, 0x3f29c268, v55
	v_mul_f32_e32 v62, 0x3df6dbef, v43
	v_fmac_f32_e32 v47, 0xbeb58ec6, v16
	v_add_f32_e32 v2, v5, v2
	v_fma_f32 v4, 0x3df6dbef, v60, -v4
	v_add_f32_e32 v5, v101, v19
	v_fmamk_f32 v19, v12, 0xbf7e222b, v62
	v_mul_f32_e32 v63, 0x3f116cb1, v42
	v_add_f32_e32 v2, v47, v2
	v_mul_f32_e32 v47, 0xbf29c268, v54
	v_add_f32_e32 v3, v4, v3
	v_add_f32_e32 v4, v19, v5
	v_fmamk_f32 v5, v8, 0x3f52af12, v63
	v_mul_f32_e32 v64, 0xbf788fa5, v27
	v_fmamk_f32 v19, v10, 0xbf3f9e67, v47
	v_mul_f32_e32 v65, 0x3f7e222b, v56
	v_mul_f32_e32 v66, 0x3f62ad3f, v51
	v_add_f32_e32 v4, v5, v4
	v_fmamk_f32 v5, v9, 0xbe750f2a, v64
	v_add_f32_e32 v19, v100, v19
	v_fmamk_f32 v20, v11, 0x3df6dbef, v65
	v_mul_f32_e32 v67, 0xbf52af12, v57
	v_mul_f32_e32 v68, 0x3e750f2a, v59
	v_add_f32_e32 v4, v5, v4
	v_fmamk_f32 v5, v6, 0xbeedf032, v66
	v_add_f32_e32 v19, v20, v19
	v_fmamk_f32 v20, v15, 0x3f116cb1, v67
	v_mul_f32_e32 v69, 0xbeb58ec6, v60
	v_mul_f32_e32 v70, 0xbeb58ec6, v46
	v_add_f32_e32 v4, v5, v4
	v_mul_f32_e32 v71, 0x3eedf032, v61
	v_add_f32_e32 v5, v20, v19
	v_fmamk_f32 v19, v14, 0xbf788fa5, v68
	v_fmamk_f32 v20, v7, 0x3f6f5d39, v69
	;; [unrolled: 1-line block ×3, first 2 shown]
	v_mul_f32_e32 v102, 0xbf3f9e67, v43
	v_fmamk_f32 v22, v16, 0x3f62ad3f, v71
	v_add_f32_e32 v19, v19, v5
	v_add_f32_e32 v5, v20, v4
	v_add_f32_e32 v4, v101, v21
	v_fmamk_f32 v20, v12, 0xbf29c268, v102
	v_mul_f32_e32 v103, 0x3f62ad3f, v42
	v_mul_f32_e32 v116, 0xbf6f5d39, v54
	v_add_f32_e32 v19, v22, v19
	v_mul_f32_e32 v115, 0xbf6f5d39, v33
	v_add_f32_e32 v4, v20, v4
	v_fmamk_f32 v20, v8, 0xbeedf032, v103
	v_mul_f32_e32 v117, 0x3df6dbef, v27
	v_fmamk_f32 v22, v10, 0xbeb58ec6, v116
	v_mul_f32_e32 v118, 0x3f29c268, v56
	v_fmac_f32_e32 v24, 0x3df6dbef, v17
	v_fmamk_f32 v21, v17, 0xbeb58ec6, v115
	v_add_f32_e32 v4, v20, v4
	v_fmamk_f32 v20, v9, 0x3f7e222b, v117
	v_mul_f32_e32 v119, 0xbf788fa5, v51
	v_add_f32_e32 v22, v100, v22
	v_fmamk_f32 v23, v11, 0xbf3f9e67, v118
	v_mul_f32_e32 v120, 0x3eedf032, v57
	v_add_f32_e32 v2, v24, v2
	v_add_f32_e32 v20, v20, v4
	v_fmamk_f32 v24, v6, 0xbe750f2a, v119
	v_add_f32_e32 v4, v21, v19
	v_add_f32_e32 v19, v23, v22
	v_fmamk_f32 v21, v15, 0x3f62ad3f, v120
	v_mul_f32_e32 v121, 0xbf7e222b, v59
	v_mul_f32_e32 v122, 0x3f116cb1, v60
	v_mul_f32_e32 v123, 0x3df6dbef, v46
	v_add_f32_e32 v20, v24, v20
	v_add_f32_e32 v19, v21, v19
	v_fmamk_f32 v21, v14, 0x3df6dbef, v121
	v_mul_f32_e32 v124, 0x3e750f2a, v61
	v_fmamk_f32 v22, v7, 0xbf52af12, v122
	v_fmamk_f32 v23, v13, 0x3f7e222b, v123
	v_mul_f32_e32 v125, 0xbf788fa5, v43
	v_add_f32_e32 v19, v21, v19
	v_fmamk_f32 v21, v16, 0xbf788fa5, v124
	v_add_f32_e32 v20, v22, v20
	v_add_f32_e32 v22, v101, v23
	v_fmamk_f32 v23, v12, 0x3e750f2a, v125
	v_mul_f32_e32 v126, 0xbeb58ec6, v42
	v_mul_f32_e32 v128, 0xbf7e222b, v54
	v_add_f32_e32 v19, v21, v19
	v_mul_f32_e32 v127, 0x3f52af12, v33
	v_add_f32_e32 v21, v23, v22
	v_fmamk_f32 v22, v8, 0xbf6f5d39, v126
	v_mul_f32_e32 v129, 0x3f62ad3f, v27
	v_fmamk_f32 v24, v10, 0x3df6dbef, v128
	v_mul_f32_e32 v130, 0xbe750f2a, v56
	v_fmamk_f32 v23, v17, 0x3f116cb1, v127
	v_add_f32_e32 v21, v22, v21
	v_fmamk_f32 v22, v9, 0xbeedf032, v129
	v_mul_f32_e32 v131, 0x3f116cb1, v51
	v_add_f32_e32 v24, v100, v24
	v_fmamk_f32 v132, v11, 0xbf788fa5, v130
	v_mul_f32_e32 v133, 0x3f6f5d39, v57
	v_add_f32_e32 v21, v22, v21
	v_fmamk_f32 v22, v6, 0x3f52af12, v131
	v_add_f32_e32 v19, v23, v19
	v_add_f32_e32 v23, v132, v24
	v_fmamk_f32 v24, v15, 0xbeb58ec6, v133
	v_mul_f32_e32 v132, 0x3eedf032, v59
	v_mul_f32_e32 v134, 0x3f116cb1, v46
	;; [unrolled: 1-line block ×3, first 2 shown]
	v_add_f32_e32 v21, v22, v21
	v_add_f32_e32 v22, v24, v23
	v_fmamk_f32 v23, v14, 0x3f62ad3f, v132
	v_mul_f32_e32 v136, 0xbf52af12, v61
	v_fmamk_f32 v24, v13, 0x3f52af12, v134
	v_mul_f32_e32 v137, 0xbeb58ec6, v43
	v_fmamk_f32 v138, v7, 0x3f29c268, v135
	v_add_f32_e32 v23, v23, v22
	v_fmamk_f32 v139, v16, 0x3f116cb1, v136
	v_add_f32_e32 v24, v101, v24
	v_fmamk_f32 v140, v12, 0x3f6f5d39, v137
	v_mul_f32_e32 v141, 0xbf788fa5, v42
	v_add_f32_e32 v22, v138, v21
	v_mul_f32_e32 v138, 0xbf52af12, v54
	v_add_f32_e32 v21, v139, v23
	v_add_f32_e32 v23, v140, v24
	v_fmamk_f32 v24, v8, 0x3e750f2a, v141
	v_mul_f32_e32 v139, 0xbf3f9e67, v27
	v_fmamk_f32 v142, v10, 0x3f116cb1, v138
	v_mul_f32_e32 v143, 0xbf6f5d39, v56
	v_mul_f32_e32 v144, 0x3df6dbef, v51
	v_add_f32_e32 v23, v24, v23
	v_fmamk_f32 v24, v9, 0xbf29c268, v139
	v_add_f32_e32 v142, v100, v142
	v_fmamk_f32 v145, v11, 0xbeb58ec6, v143
	v_mul_f32_e32 v146, 0xbe750f2a, v57
	v_mul_f32_e32 v140, 0xbf29c268, v33
	v_add_f32_e32 v23, v24, v23
	v_fmamk_f32 v24, v6, 0xbf7e222b, v144
	v_add_f32_e32 v142, v145, v142
	v_fmamk_f32 v145, v15, 0xbf788fa5, v146
	v_mul_f32_e32 v148, 0x3f29c268, v59
	v_mul_f32_e32 v46, 0x3f62ad3f, v46
	v_fmamk_f32 v147, v17, 0xbf3f9e67, v140
	v_add_f32_e32 v23, v24, v23
	v_add_f32_e32 v24, v145, v142
	v_fmamk_f32 v142, v14, 0xbf3f9e67, v148
	v_mul_f32_e32 v145, 0x3f7e222b, v61
	v_fmamk_f32 v149, v13, 0x3eedf032, v46
	v_mul_f32_e32 v43, 0x3f116cb1, v43
	v_mul_f32_e32 v154, 0xbeb58ec6, v27
	v_add_f32_e32 v27, v101, v36
	v_add_f32_e32 v21, v147, v21
	v_mul_f32_e32 v147, 0x3f62ad3f, v60
	v_add_f32_e32 v24, v142, v24
	v_fmamk_f32 v142, v16, 0x3df6dbef, v145
	v_mul_f32_e32 v150, 0x3eedf032, v33
	v_add_f32_e32 v149, v101, v149
	v_fmamk_f32 v151, v12, 0x3f52af12, v43
	v_mul_f32_e32 v42, 0x3df6dbef, v42
	v_add_f32_e32 v27, v27, v38
	v_add_f32_e32 v38, v100, v49
	v_fmamk_f32 v152, v7, 0xbeedf032, v147
	v_add_f32_e32 v142, v142, v24
	v_fmamk_f32 v153, v17, 0x3f62ad3f, v150
	v_add_f32_e32 v149, v151, v149
	v_fmamk_f32 v151, v8, 0x3f7e222b, v42
	v_add_f32_e32 v27, v27, v32
	v_add_f32_e32 v32, v38, v37
	;; [unrolled: 1-line block ×5, first 2 shown]
	v_fmamk_f32 v142, v9, 0x3f6f5d39, v154
	v_mul_f32_e32 v51, 0xbf3f9e67, v51
	v_mul_f32_e32 v54, 0xbeedf032, v54
	v_add_f32_e32 v27, v27, v34
	v_add_f32_e32 v32, v32, v39
	;; [unrolled: 1-line block ×3, first 2 shown]
	v_fmamk_f32 v49, v6, 0x3f29c268, v51
	v_fmamk_f32 v142, v10, 0x3f62ad3f, v54
	v_mul_f32_e32 v37, 0xbf52af12, v56
	v_add_f32_e32 v26, v27, v26
	v_add_f32_e32 v27, v32, v44
	;; [unrolled: 1-line block ×4, first 2 shown]
	v_fmamk_f32 v34, v11, 0x3f116cb1, v37
	v_mul_f32_e32 v39, 0xbf7e222b, v57
	v_mul_f32_e32 v49, 0xbf788fa5, v60
	v_add_f32_e32 v26, v26, v58
	v_add_f32_e32 v27, v27, v35
	;; [unrolled: 1-line block ×3, first 2 shown]
	v_fmamk_f32 v34, v15, 0x3df6dbef, v39
	v_mul_f32_e32 v38, 0xbf6f5d39, v59
	v_fmamk_f32 v35, v7, 0x3e750f2a, v49
	v_add_f32_e32 v25, v26, v25
	v_add_f32_e32 v27, v27, v52
	;; [unrolled: 1-line block ×3, first 2 shown]
	v_fmamk_f32 v34, v14, 0xbeb58ec6, v38
	v_add_f32_e32 v26, v35, v36
	v_mul_f32_e32 v35, 0xbf29c268, v61
	v_add_f32_e32 v25, v25, v50
	v_add_f32_e32 v27, v27, v53
	v_fmac_f32_e32 v55, 0xbf29c268, v13
	v_add_f32_e32 v32, v34, v32
	v_fmamk_f32 v34, v16, 0xbf3f9e67, v35
	v_mul_f32_e32 v36, 0xbe750f2a, v33
	v_add_f32_e32 v25, v25, v40
	v_add_f32_e32 v27, v27, v41
	;; [unrolled: 1-line block ×3, first 2 shown]
	v_fmac_f32_e32 v62, 0x3f7e222b, v12
	v_add_f32_e32 v32, v34, v32
	v_fmamk_f32 v34, v17, 0xbf788fa5, v36
	v_add_f32_e32 v18, v25, v18
	v_add_f32_e32 v27, v27, v45
	v_add_f32_e32 v33, v62, v33
	v_fmac_f32_e32 v63, 0xbf52af12, v8
	v_add_f32_e32 v25, v34, v32
	v_fma_f32 v32, 0xbf3f9e67, v10, -v47
	v_add_f32_e32 v18, v18, v29
	v_add_f32_e32 v27, v27, v28
	v_add_f32_e32 v29, v63, v33
	v_fmac_f32_e32 v64, 0x3e750f2a, v9
	v_add_f32_e32 v32, v100, v32
	v_fma_f32 v33, 0x3df6dbef, v11, -v65
	;; [unrolled: 6-line block ×3, first 2 shown]
	v_add_f32_e32 v27, v18, v48
	v_fmac_f32_e32 v70, 0xbf6f5d39, v13
	v_add_f32_e32 v18, v66, v29
	v_fmac_f32_e32 v69, 0xbf6f5d39, v7
	v_add_f32_e32 v29, v31, v30
	v_fma_f32 v31, 0xbf788fa5, v14, -v68
	v_add_f32_e32 v32, v101, v70
	v_fmac_f32_e32 v102, 0x3f29c268, v12
	v_add_f32_e32 v30, v69, v18
	v_fma_f32 v18, 0xbeb58ec6, v10, -v116
	v_add_f32_e32 v29, v31, v29
	v_fma_f32 v31, 0x3f62ad3f, v16, -v71
	v_add_f32_e32 v32, v102, v32
	v_fmac_f32_e32 v103, 0x3eedf032, v8
	v_add_f32_e32 v18, v100, v18
	v_fma_f32 v33, 0xbf3f9e67, v11, -v118
	;; [unrolled: 6-line block ×3, first 2 shown]
	v_fmac_f32_e32 v123, 0xbf7e222b, v13
	v_add_f32_e32 v29, v31, v29
	v_add_f32_e32 v31, v117, v32
	v_fmac_f32_e32 v119, 0x3e750f2a, v6
	v_add_f32_e32 v18, v33, v18
	v_add_f32_e32 v33, v101, v123
	v_fmac_f32_e32 v125, 0xbe750f2a, v12
	v_fma_f32 v32, 0x3df6dbef, v14, -v121
	v_add_f32_e32 v31, v119, v31
	v_fmac_f32_e32 v122, 0x3f52af12, v7
	v_fma_f32 v34, 0x3df6dbef, v10, -v128
	v_add_f32_e32 v33, v125, v33
	v_fmac_f32_e32 v126, 0x3f6f5d39, v8
	v_add_f32_e32 v18, v32, v18
	v_fma_f32 v40, 0xbf788fa5, v16, -v124
	v_add_f32_e32 v34, v100, v34
	v_fma_f32 v41, 0xbf788fa5, v11, -v130
	v_add_f32_e32 v32, v122, v31
	v_add_f32_e32 v31, v126, v33
	v_fmac_f32_e32 v129, 0x3eedf032, v9
	v_add_f32_e32 v18, v40, v18
	v_add_f32_e32 v33, v41, v34
	v_fma_f32 v34, 0xbeb58ec6, v15, -v133
	v_fma_f32 v40, 0x3f116cb1, v17, -v127
	v_add_f32_e32 v41, v129, v31
	v_fmac_f32_e32 v131, 0xbf52af12, v6
	v_fmac_f32_e32 v135, 0xbf29c268, v7
	v_add_f32_e32 v33, v34, v33
	v_fma_f32 v34, 0x3f62ad3f, v14, -v132
	v_add_f32_e32 v31, v40, v18
	v_add_f32_e32 v18, v131, v41
	v_fma_f32 v41, 0x3f116cb1, v10, -v138
	v_fma_f32 v45, 0xbeb58ec6, v11, -v143
	v_add_f32_e32 v33, v34, v33
	v_fma_f32 v34, 0x3f116cb1, v16, -v136
	v_fma_f32 v10, 0x3f62ad3f, v10, -v54
	v_add_f32_e32 v41, v100, v41
	v_fmac_f32_e32 v134, 0xbf52af12, v13
	v_fmac_f32_e32 v46, 0xbeedf032, v13
	v_add_f32_e32 v33, v34, v33
	v_add_f32_e32 v34, v135, v18
	;; [unrolled: 1-line block ×3, first 2 shown]
	v_fma_f32 v41, 0xbf788fa5, v15, -v146
	v_add_f32_e32 v10, v100, v10
	v_fma_f32 v11, 0x3f116cb1, v11, -v37
	v_add_f32_e32 v40, v101, v134
	v_fmac_f32_e32 v137, 0xbf6f5d39, v12
	v_add_f32_e32 v13, v41, v18
	v_fma_f32 v18, 0xbf3f9e67, v14, -v148
	v_add_f32_e32 v41, v101, v46
	v_fmac_f32_e32 v43, 0xbf52af12, v12
	v_fmac_f32_e32 v141, 0xbe750f2a, v8
	;; [unrolled: 1-line block ×3, first 2 shown]
	v_add_f32_e32 v8, v11, v10
	v_fma_f32 v10, 0x3df6dbef, v15, -v39
	v_lshrrev_b32_e32 v15, 2, v76
	v_add_f32_e32 v40, v137, v40
	v_add_f32_e32 v13, v18, v13
	;; [unrolled: 1-line block ×4, first 2 shown]
	v_mul_lo_u32 v10, v15, 52
	v_add_f32_e32 v40, v141, v40
	v_fmac_f32_e32 v139, 0x3f29c268, v9
	v_fma_f32 v11, 0x3df6dbef, v16, -v145
	v_add_f32_e32 v18, v42, v18
	v_fmac_f32_e32 v154, 0xbf6f5d39, v9
	v_fma_f32 v9, 0xbeb58ec6, v14, -v38
	v_add_f32_e32 v40, v139, v40
	v_fmac_f32_e32 v144, 0x3f7e222b, v6
	v_add_f32_e32 v11, v11, v13
	v_add_f32_e32 v13, v154, v18
	v_fmac_f32_e32 v51, 0xbf29c268, v6
	v_add_f32_e32 v6, v9, v8
	v_fma_f32 v8, 0xbf3f9e67, v16, -v35
	v_or_b32_e32 v10, v10, v96
	v_fma_f32 v44, 0xbf3f9e67, v17, -v140
	v_add_f32_e32 v12, v144, v40
	v_fmac_f32_e32 v147, 0x3eedf032, v7
	v_fma_f32 v9, 0x3f62ad3f, v17, -v150
	v_add_f32_e32 v13, v51, v13
	v_fmac_f32_e32 v49, 0xbe750f2a, v7
	v_add_f32_e32 v8, v8, v6
	v_fma_f32 v14, 0xbf788fa5, v17, -v36
	v_lshl_add_u32 v10, v10, 3, 0
	v_add_f32_e32 v33, v44, v33
	v_add_f32_e32 v7, v147, v12
	;; [unrolled: 1-line block ×5, first 2 shown]
	ds_write2_b64 v10, v[27:28], v[25:26] offset1:4
	ds_write2_b64 v10, v[23:24], v[21:22] offset0:8 offset1:12
	ds_write2_b64 v10, v[19:20], v[4:5] offset0:16 offset1:20
	;; [unrolled: 1-line block ×5, first 2 shown]
	ds_write_b64 v10, v[8:9] offset:384
.LBB0_23:
	s_or_b32 exec_lo, exec_lo, s4
	v_mul_u32_u24_e32 v0, 6, v72
	s_waitcnt lgkmcnt(0)
	s_barrier
	buffer_gl0_inv
	v_add_nc_u32_e32 v31, v90, v98
	v_lshlrev_b32_e32 v0, 3, v0
	v_add_nc_u32_e32 v30, v92, v114
	v_add_nc_u32_e32 v32, 0x1000, v104
	;; [unrolled: 1-line block ×4, first 2 shown]
	s_clause 0x2
	global_load_dwordx4 v[24:27], v0, s[8:9] offset:400
	global_load_dwordx4 v[20:23], v0, s[8:9] offset:416
	global_load_dwordx4 v[16:19], v0, s[8:9] offset:432
	v_and_b32_e32 v0, 0xff, v88
	v_add_nc_u32_e32 v59, 0x1c00, v104
	v_add_nc_u32_e32 v34, 0x800, v104
	v_mov_b32_e32 v90, 0
	v_add_nc_u32_e32 v92, 0x400, v104
	v_mul_lo_u16 v0, 0x4f, v0
	s_add_u32 s4, s8, 0x2210
	s_addc_u32 s5, s9, 0
	v_lshlrev_b64 v[67:68], 3, v[89:90]
	v_mov_b32_e32 v100, v90
	v_lshrrev_b16 v0, 12, v0
	v_mov_b32_e32 v98, v90
	v_mov_b32_e32 v96, v90
	s_mov_b32 s6, exec_lo
	v_add_co_u32 v89, s1, s8, v67
	v_mul_lo_u16 v0, v0, 52
	v_lshlrev_b64 v[99:100], 3, v[99:100]
	v_add_co_ci_u32_e64 v103, s1, s9, v68, s1
	v_lshlrev_b64 v[97:98], 3, v[97:98]
	v_sub_nc_u16 v0, v88, v0
	v_lshlrev_b64 v[67:68], 3, v[95:96]
	v_add_co_u32 v95, s1, 0x800, v89
	v_add_co_ci_u32_e64 v96, s1, 0, v103, s1
	v_and_b32_e32 v71, 0xff, v0
	v_add_co_u32 v89, s1, s8, v99
	v_add_co_ci_u32_e64 v99, s1, s9, v100, s1
	v_mul_u32_u24_e32 v0, 6, v71
	v_add_co_u32 v100, s1, s8, v97
	v_add_co_ci_u32_e64 v103, s1, s9, v98, s1
	v_lshlrev_b32_e32 v0, 3, v0
	v_lshl_add_u32 v71, v71, 3, 0
	s_clause 0x2
	global_load_dwordx4 v[8:11], v0, s[8:9] offset:400
	global_load_dwordx4 v[4:7], v0, s[8:9] offset:416
	;; [unrolled: 1-line block ×3, first 2 shown]
	ds_read2_b64 v[12:15], v104 offset1:208
	ds_read_b64 v[28:29], v109
	ds_read_b64 v[63:64], v31
	;; [unrolled: 1-line block ×3, first 2 shown]
	ds_read2_b64 v[35:38], v32 offset0:60 offset1:112
	ds_read2_b64 v[39:42], v33 offset0:12 offset1:64
	;; [unrolled: 1-line block ×7, first 2 shown]
	ds_read_b64 v[69:70], v107
	ds_read_b64 v[101:102], v108
	s_waitcnt vmcnt(0) lgkmcnt(0)
	s_barrier
	buffer_gl0_inv
	v_add_co_u32 v97, s1, 0x800, v89
	v_add_co_ci_u32_e64 v98, s1, 0, v99, s1
	v_add_co_u32 v99, s1, 0x800, v100
	v_add_nc_u32_e32 v89, 0x1400, v71
	v_add_co_ci_u32_e64 v100, s1, 0, v103, s1
	v_add_nc_u32_e32 v103, 0x1800, v71
	v_mul_f32_e32 v114, v25, v70
	v_mul_f32_e32 v115, v25, v69
	;; [unrolled: 1-line block ×24, first 2 shown]
	v_fmac_f32_e32 v114, v24, v69
	v_fma_f32 v69, v24, v70, -v115
	v_fmac_f32_e32 v116, v26, v63
	v_fma_f32 v63, v26, v64, -v117
	;; [unrolled: 2-line block ×12, first 2 shown]
	v_add_f32_e32 v18, v114, v124
	v_add_f32_e32 v19, v69, v39
	v_sub_f32_e32 v22, v114, v124
	v_sub_f32_e32 v23, v69, v39
	v_add_f32_e32 v24, v116, v122
	v_add_f32_e32 v25, v63, v38
	v_sub_f32_e32 v26, v116, v122
	v_sub_f32_e32 v27, v63, v38
	;; [unrolled: 4-line block ×3, first 2 shown]
	v_add_f32_e32 v41, v126, v131
	v_add_f32_e32 v42, v14, v17
	v_sub_f32_e32 v14, v14, v17
	v_add_f32_e32 v17, v127, v130
	v_add_f32_e32 v46, v15, v16
	v_sub_f32_e32 v45, v126, v131
	v_sub_f32_e32 v49, v127, v130
	;; [unrolled: 1-line block ×3, first 2 shown]
	v_add_f32_e32 v16, v128, v129
	v_add_f32_e32 v50, v20, v21
	v_sub_f32_e32 v53, v129, v128
	v_sub_f32_e32 v20, v21, v20
	v_add_f32_e32 v21, v24, v18
	v_add_f32_e32 v54, v25, v19
	v_sub_f32_e32 v55, v24, v18
	v_sub_f32_e32 v56, v25, v19
	;; [unrolled: 1-line block ×6, first 2 shown]
	v_add_f32_e32 v59, v40, v26
	v_add_f32_e32 v60, v37, v27
	v_sub_f32_e32 v63, v40, v26
	v_sub_f32_e32 v26, v26, v22
	v_add_f32_e32 v65, v17, v41
	v_add_f32_e32 v66, v46, v42
	v_sub_f32_e32 v64, v37, v27
	v_sub_f32_e32 v40, v22, v40
	v_sub_f32_e32 v37, v23, v37
	v_sub_f32_e32 v27, v27, v23
	v_sub_f32_e32 v69, v17, v41
	v_sub_f32_e32 v70, v46, v42
	v_sub_f32_e32 v41, v41, v16
	v_sub_f32_e32 v42, v42, v50
	v_sub_f32_e32 v17, v16, v17
	v_sub_f32_e32 v46, v50, v46
	v_add_f32_e32 v114, v53, v49
	v_add_f32_e32 v115, v20, v15
	v_sub_f32_e32 v116, v53, v49
	v_sub_f32_e32 v117, v20, v15
	;; [unrolled: 1-line block ×4, first 2 shown]
	v_add_f32_e32 v21, v38, v21
	v_add_f32_e32 v38, v39, v54
	;; [unrolled: 1-line block ×3, first 2 shown]
	v_mul_f32_e32 v15, 0x3f4a47b2, v18
	v_mul_f32_e32 v18, 0x3f4a47b2, v19
	;; [unrolled: 1-line block ×6, first 2 shown]
	v_add_f32_e32 v16, v16, v65
	v_add_f32_e32 v50, v50, v66
	v_sub_f32_e32 v53, v45, v53
	v_sub_f32_e32 v20, v14, v20
	v_add_f32_e32 v22, v59, v22
	v_mul_f32_e32 v59, 0x3f08b237, v64
	v_mul_f32_e32 v63, 0xbf5ff5aa, v27
	v_add_f32_e32 v45, v114, v45
	v_add_f32_e32 v64, v115, v14
	v_mul_f32_e32 v41, 0x3f4a47b2, v41
	v_mul_f32_e32 v42, 0x3f4a47b2, v42
	;; [unrolled: 1-line block ×8, first 2 shown]
	v_add_f32_e32 v12, v21, v12
	v_add_f32_e32 v13, v38, v13
	v_fmamk_f32 v24, v24, 0x3d64c772, v15
	v_fmamk_f32 v25, v25, 0x3d64c772, v18
	v_fma_f32 v19, 0x3f3bfb3b, v55, -v19
	v_fma_f32 v39, 0x3f3bfb3b, v56, -v39
	;; [unrolled: 1-line block ×4, first 2 shown]
	v_fmamk_f32 v56, v40, 0xbeae86e6, v54
	v_fma_f32 v26, 0xbf5ff5aa, v26, -v54
	v_fma_f32 v40, 0x3eae86e6, v40, -v60
	v_add_f32_e32 v14, v16, v28
	v_add_f32_e32 v15, v50, v29
	v_fmamk_f32 v119, v37, 0xbeae86e6, v59
	v_fma_f32 v27, 0xbf5ff5aa, v27, -v59
	v_fma_f32 v37, 0x3eae86e6, v37, -v63
	v_fmamk_f32 v17, v17, 0x3d64c772, v41
	v_fmamk_f32 v28, v46, 0x3d64c772, v42
	v_fma_f32 v29, 0x3f3bfb3b, v69, -v65
	v_fma_f32 v46, 0x3f3bfb3b, v70, -v66
	;; [unrolled: 1-line block ×4, first 2 shown]
	v_fmamk_f32 v54, v53, 0xbeae86e6, v114
	v_fmamk_f32 v59, v20, 0xbeae86e6, v115
	v_fma_f32 v49, 0xbf5ff5aa, v49, -v114
	v_fma_f32 v60, 0xbf5ff5aa, v118, -v115
	;; [unrolled: 1-line block ×4, first 2 shown]
	v_mul_f32_e32 v65, v48, v9
	v_mul_f32_e32 v9, v47, v9
	;; [unrolled: 1-line block ×12, first 2 shown]
	v_fmamk_f32 v20, v21, 0xbf955555, v12
	v_fmamk_f32 v21, v38, 0xbf955555, v13
	v_fmac_f32_e32 v56, 0xbee1c552, v22
	v_fmac_f32_e32 v26, 0xbee1c552, v22
	;; [unrolled: 1-line block ×3, first 2 shown]
	v_fmamk_f32 v16, v16, 0xbf955555, v14
	v_fmamk_f32 v22, v50, 0xbf955555, v15
	v_fmac_f32_e32 v119, 0xbee1c552, v23
	v_fmac_f32_e32 v27, 0xbee1c552, v23
	;; [unrolled: 1-line block ×10, first 2 shown]
	v_fma_f32 v38, v48, v8, -v9
	v_fmac_f32_e32 v66, v51, v10
	v_fma_f32 v45, v52, v10, -v11
	v_fmac_f32_e32 v69, v35, v4
	;; [unrolled: 2-line block ×5, first 2 shown]
	v_fma_f32 v44, v62, v2, -v3
	v_add_f32_e32 v10, v24, v20
	v_add_f32_e32 v11, v25, v21
	;; [unrolled: 1-line block ×12, first 2 shown]
	v_sub_f32_e32 v3, v9, v40
	v_sub_f32_e32 v4, v6, v27
	v_add_f32_e32 v5, v26, v7
	v_add_f32_e32 v6, v27, v6
	v_sub_f32_e32 v7, v7, v26
	v_add_f32_e32 v9, v40, v9
	v_add_f32_e32 v16, v59, v39
	v_sub_f32_e32 v17, v28, v54
	v_add_f32_e32 v18, v63, v25
	v_sub_f32_e32 v19, v29, v53
	v_sub_f32_e32 v20, v23, v60
	v_add_f32_e32 v21, v49, v24
	v_add_f32_e32 v22, v60, v23
	v_sub_f32_e32 v23, v24, v49
	v_sub_f32_e32 v24, v25, v63
	v_add_f32_e32 v25, v53, v29
	v_sub_f32_e32 v26, v39, v59
	v_add_f32_e32 v27, v54, v28
	v_add_f32_e32 v28, v65, v115
	;; [unrolled: 1-line block ×6, first 2 shown]
	v_sub_f32_e32 v1, v11, v56
	v_sub_f32_e32 v38, v38, v44
	;; [unrolled: 1-line block ×4, first 2 shown]
	v_add_f32_e32 v43, v69, v70
	v_add_f32_e32 v44, v35, v36
	v_sub_f32_e32 v45, v70, v69
	v_sub_f32_e32 v35, v36, v35
	v_add_f32_e32 v36, v39, v28
	v_add_f32_e32 v46, v40, v29
	;; [unrolled: 1-line block ×3, first 2 shown]
	v_sub_f32_e32 v8, v8, v37
	v_sub_f32_e32 v37, v65, v115
	;; [unrolled: 1-line block ×3, first 2 shown]
	v_add_f32_e32 v11, v56, v11
	v_sub_f32_e32 v47, v39, v28
	v_sub_f32_e32 v48, v40, v29
	;; [unrolled: 1-line block ×6, first 2 shown]
	ds_write2_b64 v104, v[12:13], v[0:1] offset1:52
	ds_write2_b64 v104, v[2:3], v[4:5] offset0:104 offset1:156
	ds_write2_b64 v92, v[6:7], v[8:9] offset0:80 offset1:132
	;; [unrolled: 1-line block ×5, first 2 shown]
	v_add_f32_e32 v2, v43, v36
	v_add_f32_e32 v3, v44, v46
	v_sub_f32_e32 v39, v43, v39
	v_sub_f32_e32 v40, v44, v40
	v_add_f32_e32 v49, v45, v41
	v_add_f32_e32 v50, v35, v42
	v_sub_f32_e32 v41, v41, v37
	v_sub_f32_e32 v42, v42, v38
	;; [unrolled: 1-line block ×4, first 2 shown]
	v_mul_f32_e32 v6, 0x3f4a47b2, v28
	v_mul_f32_e32 v7, 0x3f4a47b2, v29
	;; [unrolled: 1-line block ×4, first 2 shown]
	v_add_f32_e32 v0, v2, v101
	v_add_f32_e32 v1, v3, v102
	v_mul_f32_e32 v8, 0x3d64c772, v39
	v_mul_f32_e32 v9, 0x3d64c772, v40
	;; [unrolled: 1-line block ×4, first 2 shown]
	v_add_f32_e32 v4, v49, v37
	v_add_f32_e32 v5, v50, v38
	v_fmamk_f32 v14, v39, 0x3d64c772, v6
	v_fmamk_f32 v15, v40, 0x3d64c772, v7
	;; [unrolled: 1-line block ×6, first 2 shown]
	v_fma_f32 v8, 0x3f3bfb3b, v47, -v8
	v_fma_f32 v9, 0x3f3bfb3b, v48, -v9
	;; [unrolled: 1-line block ×8, first 2 shown]
	v_fmac_f32_e32 v16, 0xbee1c552, v4
	v_fmac_f32_e32 v17, 0xbee1c552, v5
	v_add_f32_e32 v14, v14, v2
	v_add_f32_e32 v15, v15, v3
	v_fmac_f32_e32 v10, 0xbee1c552, v4
	v_fmac_f32_e32 v11, 0xbee1c552, v5
	;; [unrolled: 1-line block ×4, first 2 shown]
	v_add_f32_e32 v8, v8, v2
	v_add_f32_e32 v18, v6, v2
	v_add_f32_e32 v19, v7, v3
	v_add_f32_e32 v9, v9, v3
	v_add_f32_e32 v2, v17, v14
	v_sub_f32_e32 v3, v15, v16
	v_add_f32_e32 v4, v13, v18
	v_sub_f32_e32 v5, v19, v12
	v_sub_f32_e32 v6, v8, v11
	v_add_f32_e32 v7, v10, v9
	v_add_f32_e32 v8, v11, v8
	v_sub_f32_e32 v9, v9, v10
	v_sub_f32_e32 v10, v18, v13
	v_add_f32_e32 v11, v12, v19
	v_sub_f32_e32 v12, v14, v17
	v_add_f32_e32 v13, v16, v15
	ds_write2_b64 v32, v[24:25], v[26:27] offset0:112 offset1:164
	ds_write2_b64 v89, v[0:1], v[2:3] offset0:88 offset1:140
	;; [unrolled: 1-line block ×4, first 2 shown]
	ds_write_b64 v71, v[12:13] offset:8320
	s_waitcnt lgkmcnt(0)
	s_barrier
	buffer_gl0_inv
	s_clause 0x1
	global_load_dwordx4 v[0:3], v[95:96], off offset:848
	global_load_dwordx4 v[6:9], v[97:98], off offset:848
	v_mov_b32_e32 v95, v90
	v_add_co_u32 v10, s1, s8, v67
	v_add_co_ci_u32_e64 v11, s1, s9, v68, s1
	v_lshlrev_b64 v[4:5], 3, v[94:95]
	v_add_co_u32 v14, s1, 0x800, v10
	v_add_co_ci_u32_e64 v15, s1, 0, v11, s1
	v_mov_b32_e32 v94, v90
	v_add_co_u32 v4, s1, s8, v4
	v_add_co_ci_u32_e64 v5, s1, s9, v5, s1
	v_mov_b32_e32 v92, v90
	v_add_co_u32 v4, s1, 0x800, v4
	v_add_co_ci_u32_e64 v5, s1, 0, v5, s1
	v_lshlrev_b64 v[22:23], 3, v[93:94]
	s_clause 0x2
	global_load_dwordx4 v[10:13], v[99:100], off offset:848
	global_load_dwordx4 v[14:17], v[14:15], off offset:848
	;; [unrolled: 1-line block ×3, first 2 shown]
	v_lshlrev_b64 v[4:5], 3, v[91:92]
	v_add_co_u32 v22, s1, s8, v22
	v_add_co_ci_u32_e64 v23, s1, s9, v23, s1
	v_add_co_u32 v24, s1, s8, v4
	v_add_co_ci_u32_e64 v25, s1, s9, v5, s1
	;; [unrolled: 2-line block ×4, first 2 shown]
	s_clause 0x1
	global_load_dwordx4 v[22:25], v[4:5], off offset:848
	global_load_dwordx4 v[26:29], v[26:27], off offset:848
	v_add_nc_u32_e32 v4, v111, v113
	v_add_nc_u32_e32 v5, 0x1400, v104
	ds_read_b64 v[59:60], v4
	ds_read2_b64 v[35:38], v5 offset0:88 offset1:140
	v_add_nc_u32_e32 v5, v110, v112
	ds_read2_b64 v[39:42], v34 offset0:160 offset1:212
	ds_read_b64 v[61:62], v104
	ds_read_b64 v[63:64], v108
	ds_read2_b64 v[43:46], v33 offset0:64 offset1:116
	ds_read2_b64 v[47:50], v32 offset0:8 offset1:60
	ds_read_b64 v[65:66], v107
	ds_read_b64 v[67:68], v106
	ds_read2_b64 v[51:54], v33 offset0:168 offset1:220
	ds_read_b64 v[33:34], v5
	ds_read2_b64 v[55:58], v32 offset0:112 offset1:164
	ds_read_b64 v[69:70], v31
	ds_read_b64 v[91:92], v109
	ds_read_b64 v[93:94], v104 offset:8320
	s_waitcnt vmcnt(0) lgkmcnt(0)
	s_barrier
	buffer_gl0_inv
	v_mul_f32_e32 v32, v1, v60
	v_mul_f32_e32 v1, v1, v59
	;; [unrolled: 1-line block ×8, first 2 shown]
	v_fmac_f32_e32 v32, v0, v59
	v_fma_f32 v0, v0, v60, -v1
	v_fmac_f32_e32 v71, v2, v35
	v_fma_f32 v1, v2, v36, -v3
	;; [unrolled: 2-line block ×4, first 2 shown]
	v_mul_f32_e32 v96, v42, v11
	v_mul_f32_e32 v11, v41, v11
	;; [unrolled: 1-line block ×12, first 2 shown]
	v_fmac_f32_e32 v96, v41, v10
	v_fma_f32 v6, v42, v10, -v11
	v_fmac_f32_e32 v97, v43, v12
	v_fma_f32 v7, v44, v12, -v13
	;; [unrolled: 2-line block ×6, first 2 shown]
	v_mul_f32_e32 v102, v56, v23
	v_mul_f32_e32 v23, v55, v23
	;; [unrolled: 1-line block ×8, first 2 shown]
	v_fmac_f32_e32 v102, v55, v22
	v_fma_f32 v12, v56, v22, -v23
	v_fmac_f32_e32 v103, v53, v24
	v_fma_f32 v13, v54, v24, -v25
	v_fmac_f32_e32 v110, v57, v26
	v_fma_f32 v14, v58, v26, -v27
	v_fmac_f32_e32 v111, v93, v28
	v_fma_f32 v15, v94, v28, -v29
	v_add_f32_e32 v17, v32, v71
	v_add_f32_e32 v20, v0, v1
	;; [unrolled: 1-line block ×16, first 2 shown]
	v_sub_f32_e32 v18, v0, v1
	v_sub_f32_e32 v21, v32, v71
	v_fma_f32 v61, -0.5, v17, v61
	v_fmac_f32_e32 v62, -0.5, v20
	v_add_f32_e32 v22, v91, v89
	v_add_f32_e32 v25, v92, v2
	v_sub_f32_e32 v24, v2, v3
	v_sub_f32_e32 v27, v89, v95
	v_fma_f32 v91, -0.5, v23, v91
	v_fmac_f32_e32 v92, -0.5, v26
	v_add_f32_e32 v28, v63, v96
	v_sub_f32_e32 v32, v6, v7
	v_add_f32_e32 v35, v64, v6
	v_sub_f32_e32 v37, v96, v97
	;; [unrolled: 2-line block ×10, first 2 shown]
	v_add_f32_e32 v0, v16, v71
	v_add_f32_e32 v1, v19, v1
	v_fma_f32 v63, -0.5, v29, v63
	v_fmac_f32_e32 v64, -0.5, v36
	v_fma_f32 v65, -0.5, v39, v65
	v_fmac_f32_e32 v66, -0.5, v42
	;; [unrolled: 2-line block ×5, first 2 shown]
	v_fmamk_f32 v16, v18, 0xbf5db3d7, v61
	v_fmamk_f32 v17, v21, 0x3f5db3d7, v62
	v_fmac_f32_e32 v61, 0x3f5db3d7, v18
	v_fmac_f32_e32 v62, 0xbf5db3d7, v21
	v_add_f32_e32 v2, v22, v95
	v_add_f32_e32 v3, v25, v3
	v_fmamk_f32 v18, v24, 0xbf5db3d7, v91
	v_fmamk_f32 v19, v27, 0x3f5db3d7, v92
	v_add_f32_e32 v6, v28, v97
	v_add_f32_e32 v7, v35, v7
	;; [unrolled: 1-line block ×10, first 2 shown]
	v_fmac_f32_e32 v91, 0x3f5db3d7, v24
	v_fmac_f32_e32 v92, 0xbf5db3d7, v27
	v_fmamk_f32 v20, v32, 0xbf5db3d7, v63
	v_fmac_f32_e32 v63, 0x3f5db3d7, v32
	v_fmamk_f32 v21, v37, 0x3f5db3d7, v64
	;; [unrolled: 2-line block ×10, first 2 shown]
	v_fmac_f32_e32 v70, 0xbf5db3d7, v89
	ds_write_b64 v104, v[0:1]
	ds_write_b64 v104, v[16:17] offset:2912
	ds_write_b64 v104, v[61:62] offset:5824
	ds_write_b64 v109, v[2:3]
	ds_write_b64 v109, v[18:19] offset:2912
	ds_write_b64 v109, v[91:92] offset:5824
	ds_write_b64 v108, v[6:7]
	ds_write_b64 v108, v[20:21] offset:2912
	ds_write_b64 v108, v[63:64] offset:5824
	ds_write_b64 v107, v[8:9]
	ds_write_b64 v107, v[22:23] offset:2912
	ds_write_b64 v107, v[65:66] offset:5824
	ds_write_b64 v106, v[10:11]
	ds_write_b64 v106, v[24:25] offset:2912
	ds_write_b64 v106, v[67:68] offset:5824
	ds_write_b64 v5, v[12:13]
	ds_write_b64 v5, v[26:27] offset:2912
	ds_write_b64 v5, v[33:34] offset:5824
	ds_write_b64 v31, v[14:15]
	ds_write_b64 v31, v[28:29] offset:2912
	ds_write_b64 v31, v[69:70] offset:5824
	s_waitcnt lgkmcnt(0)
	s_barrier
	buffer_gl0_inv
	ds_read_b64 v[2:3], v104
	v_sub_nc_u32_e32 v6, 0, v73
                                        ; implicit-def: $vgpr1
                                        ; implicit-def: $vgpr8
	v_cmpx_ne_u32_e32 0, v72
	s_xor_b32 s6, exec_lo, s6
	s_cbranch_execz .LBB0_25
; %bb.24:
	v_mov_b32_e32 v73, v90
	v_lshlrev_b64 v[0:1], 3, v[72:73]
	v_add_co_u32 v0, s1, s4, v0
	v_add_co_ci_u32_e64 v1, s1, s5, v1, s1
	global_load_dwordx2 v[7:8], v[0:1], off
	ds_read_b64 v[0:1], v6 offset:8736
	s_waitcnt lgkmcnt(0)
	v_sub_f32_e32 v9, v2, v0
	v_add_f32_e32 v10, v1, v3
	v_sub_f32_e32 v1, v3, v1
	v_add_f32_e32 v0, v0, v2
	v_mul_f32_e32 v3, 0.5, v9
	v_mul_f32_e32 v2, 0.5, v10
	;; [unrolled: 1-line block ×3, first 2 shown]
	s_waitcnt vmcnt(0)
	v_mul_f32_e32 v9, v8, v3
	v_fma_f32 v10, v2, v8, v1
	v_fma_f32 v1, v2, v8, -v1
	v_fma_f32 v11, 0.5, v0, v9
	v_fma_f32 v0, v0, 0.5, -v9
	v_fma_f32 v8, -v7, v3, v10
	v_fma_f32 v1, -v7, v3, v1
	v_fmac_f32_e32 v11, v7, v2
	v_fma_f32 v0, -v7, v2, v0
                                        ; implicit-def: $vgpr2_vgpr3
	ds_write_b32 v104, v11
.LBB0_25:
	s_or_saveexec_b32 s1, s6
	v_sub_nc_u32_e32 v7, 0, v77
	s_xor_b32 exec_lo, exec_lo, s1
	s_cbranch_execz .LBB0_27
; %bb.26:
	v_mov_b32_e32 v8, 0
	s_waitcnt lgkmcnt(0)
	v_add_f32_e32 v9, v2, v3
	v_sub_f32_e32 v0, v2, v3
	ds_read_b32 v1, v8 offset:4372
	s_waitcnt lgkmcnt(0)
	v_xor_b32_e32 v2, 0x80000000, v1
	v_mov_b32_e32 v1, v8
	ds_write_b32 v104, v9
	ds_write_b32 v8, v2 offset:4372
.LBB0_27:
	s_or_b32 exec_lo, exec_lo, s1
	v_mov_b32_e32 v77, 0
	ds_write_b32 v104, v8 offset:4
	ds_write_b64 v6, v[0:1] offset:8736
	v_add_nc_u32_e32 v7, v75, v7
	s_waitcnt lgkmcnt(2)
	v_lshlrev_b64 v[2:3], 3, v[76:77]
	v_mov_b32_e32 v89, v77
	v_lshlrev_b64 v[9:10], 3, v[88:89]
	v_add_co_u32 v2, s1, s4, v2
	v_add_co_ci_u32_e64 v3, s1, s5, v3, s1
	v_mov_b32_e32 v88, v77
	v_add_co_u32 v9, s1, s4, v9
	global_load_dwordx2 v[2:3], v[2:3], off
	v_add_co_ci_u32_e64 v10, s1, s5, v10, s1
	v_lshlrev_b64 v[11:12], 3, v[87:88]
	v_mov_b32_e32 v87, v77
	global_load_dwordx2 v[9:10], v[9:10], off
	v_add_co_u32 v11, s1, s4, v11
	v_add_co_ci_u32_e64 v12, s1, s5, v12, s1
	v_lshlrev_b64 v[13:14], 3, v[86:87]
	v_mov_b32_e32 v86, v77
	global_load_dwordx2 v[11:12], v[11:12], off
	v_add_co_u32 v13, s1, s4, v13
	;; [unrolled: 5-line block ×4, first 2 shown]
	v_add_co_ci_u32_e64 v18, s1, s5, v18, s1
	v_lshlrev_b64 v[19:20], 3, v[83:84]
	v_mov_b32_e32 v83, v77
	global_load_dwordx2 v[17:18], v[17:18], off
	ds_read_b64 v[0:1], v109
	ds_read_b64 v[21:22], v6 offset:8320
	v_add_co_u32 v19, s1, s4, v19
	v_add_co_ci_u32_e64 v20, s1, s5, v20, s1
	global_load_dwordx2 v[19:20], v[19:20], off
	s_waitcnt lgkmcnt(0)
	v_sub_f32_e32 v8, v0, v21
	v_add_f32_e32 v23, v1, v22
	v_sub_f32_e32 v1, v1, v22
	v_add_f32_e32 v21, v0, v21
	v_mul_f32_e32 v8, 0.5, v8
	v_mul_f32_e32 v23, 0.5, v23
	;; [unrolled: 1-line block ×3, first 2 shown]
	s_waitcnt vmcnt(6)
	v_mul_f32_e32 v22, v3, v8
	v_fma_f32 v24, v23, v3, v1
	v_fma_f32 v3, v23, v3, -v1
	v_fma_f32 v0, 0.5, v21, v22
	v_fma_f32 v25, v21, 0.5, -v22
	v_lshlrev_b64 v[21:22], 3, v[82:83]
	v_fma_f32 v1, -v2, v8, v24
	v_fma_f32 v3, -v2, v8, v3
	v_fmac_f32_e32 v0, v2, v23
	v_fma_f32 v2, -v2, v23, v25
	v_mov_b32_e32 v82, v77
	v_add_co_u32 v21, s1, s4, v21
	v_add_co_ci_u32_e64 v22, s1, s5, v22, s1
	ds_write_b64 v109, v[0:1]
	ds_write_b64 v6, v[2:3] offset:8320
	ds_read_b64 v[0:1], v108
	ds_read_b64 v[2:3], v6 offset:7904
	global_load_dwordx2 v[21:22], v[21:22], off
	s_waitcnt lgkmcnt(0)
	v_add_f32_e32 v23, v1, v3
	v_sub_f32_e32 v1, v1, v3
	v_sub_f32_e32 v8, v0, v2
	v_add_f32_e32 v24, v0, v2
	v_mul_f32_e32 v23, 0.5, v23
	v_mul_f32_e32 v3, 0.5, v1
	v_lshlrev_b64 v[0:1], 3, v[81:82]
	v_mul_f32_e32 v8, 0.5, v8
	s_waitcnt vmcnt(6)
	v_fma_f32 v26, v23, v10, v3
	v_add_co_u32 v0, s1, s4, v0
	v_add_co_ci_u32_e64 v1, s1, s5, v1, s1
	v_mul_f32_e32 v25, v10, v8
	v_fma_f32 v10, v23, v10, -v3
	v_fma_f32 v3, -v9, v8, v26
	global_load_dwordx2 v[0:1], v[0:1], off
	v_fma_f32 v2, 0.5, v24, v25
	v_fma_f32 v24, v24, 0.5, -v25
	v_fma_f32 v10, -v9, v8, v10
	v_fmac_f32_e32 v2, v9, v23
	v_fma_f32 v9, -v9, v23, v24
	ds_write_b64 v108, v[2:3]
	ds_write_b64 v6, v[9:10] offset:7904
	ds_read_b64 v[2:3], v107
	ds_read_b64 v[8:9], v6 offset:7488
	s_waitcnt lgkmcnt(0)
	v_sub_f32_e32 v10, v2, v8
	v_add_f32_e32 v23, v3, v9
	v_sub_f32_e32 v3, v3, v9
	v_add_f32_e32 v8, v2, v8
	v_mul_f32_e32 v9, 0.5, v10
	v_mul_f32_e32 v10, 0.5, v23
	v_mul_f32_e32 v3, 0.5, v3
	s_waitcnt vmcnt(6)
	v_mul_f32_e32 v23, v12, v9
	v_fma_f32 v24, v10, v12, v3
	v_fma_f32 v12, v10, v12, -v3
	v_fma_f32 v2, 0.5, v8, v23
	v_fma_f32 v8, v8, 0.5, -v23
	v_fma_f32 v3, -v11, v9, v24
	v_fma_f32 v9, -v11, v9, v12
	v_fmac_f32_e32 v2, v11, v10
	v_fma_f32 v8, -v11, v10, v8
	ds_write_b64 v107, v[2:3]
	ds_write_b64 v6, v[8:9] offset:7488
	ds_read_b64 v[2:3], v106
	ds_read_b64 v[8:9], v6 offset:7072
	s_waitcnt lgkmcnt(0)
	v_sub_f32_e32 v10, v2, v8
	v_add_f32_e32 v11, v3, v9
	v_sub_f32_e32 v3, v3, v9
	v_add_f32_e32 v8, v2, v8
	v_mul_f32_e32 v9, 0.5, v10
	v_mul_f32_e32 v10, 0.5, v11
	v_mul_f32_e32 v3, 0.5, v3
	s_waitcnt vmcnt(5)
	v_mul_f32_e32 v11, v14, v9
	v_fma_f32 v12, v10, v14, v3
	v_fma_f32 v14, v10, v14, -v3
	v_fma_f32 v2, 0.5, v8, v11
	v_fma_f32 v8, v8, 0.5, -v11
	v_fma_f32 v3, -v13, v9, v12
	;; [unrolled: 22-line block ×7, first 2 shown]
	v_fma_f32 v4, -v0, v5, v3
	v_fmac_f32_e32 v1, v0, v7
	v_fma_f32 v3, -v0, v7, v9
	ds_write_b64 v30, v[1:2]
	ds_write_b64 v6, v[3:4] offset:4992
	s_and_saveexec_b32 s1, s0
	s_cbranch_execz .LBB0_29
; %bb.28:
	v_mov_b32_e32 v81, v77
	v_lshlrev_b64 v[0:1], 3, v[80:81]
	v_add_co_u32 v0, s0, s4, v0
	v_add_co_ci_u32_e64 v1, s0, s5, v1, s0
	global_load_dwordx2 v[0:1], v[0:1], off
	ds_read_b64 v[2:3], v105
	ds_read_b64 v[4:5], v6 offset:4576
	s_waitcnt lgkmcnt(0)
	v_sub_f32_e32 v7, v2, v4
	v_add_f32_e32 v8, v3, v5
	v_sub_f32_e32 v3, v3, v5
	v_add_f32_e32 v2, v2, v4
	v_mul_f32_e32 v5, 0.5, v7
	v_mul_f32_e32 v7, 0.5, v8
	;; [unrolled: 1-line block ×3, first 2 shown]
	s_waitcnt vmcnt(0)
	v_mul_f32_e32 v4, v1, v5
	v_fma_f32 v8, v7, v1, v3
	v_fma_f32 v3, v7, v1, -v3
	v_fma_f32 v1, 0.5, v2, v4
	v_fma_f32 v9, v2, 0.5, -v4
	v_fma_f32 v2, -v0, v5, v8
	v_fma_f32 v4, -v0, v5, v3
	v_fmac_f32_e32 v1, v0, v7
	v_fma_f32 v3, -v0, v7, v9
	ds_write_b64 v105, v[1:2]
	ds_write_b64 v6, v[3:4] offset:4576
.LBB0_29:
	s_or_b32 exec_lo, exec_lo, s1
	s_waitcnt lgkmcnt(0)
	s_barrier
	buffer_gl0_inv
	s_and_saveexec_b32 s0, vcc_lo
	s_cbranch_execz .LBB0_32
; %bb.30:
	v_mov_b32_e32 v73, 0
	v_add_nc_u32_e32 v0, 0x400, v104
	ds_read2_b64 v[2:5], v104 offset1:52
	v_add_nc_u32_e32 v20, 0x800, v104
	ds_read2_b64 v[6:9], v104 offset0:104 offset1:156
	v_lshlrev_b64 v[18:19], 3, v[72:73]
	ds_read2_b64 v[10:13], v0 offset0:80 offset1:132
	v_add_co_u32 v0, vcc_lo, s2, v78
	v_add_co_ci_u32_e32 v1, vcc_lo, s3, v79, vcc_lo
	ds_read2_b64 v[14:17], v20 offset0:56 offset1:108
	v_add_nc_u32_e32 v30, 0x1000, v104
	v_add_co_u32 v26, vcc_lo, v0, v18
	v_add_co_ci_u32_e32 v27, vcc_lo, v1, v19, vcc_lo
	ds_read2_b64 v[18:21], v20 offset0:160 offset1:212
	ds_read2_b64 v[22:25], v30 offset0:8 offset1:60
	v_add_co_u32 v28, vcc_lo, 0x800, v26
	v_add_co_ci_u32_e32 v29, vcc_lo, 0, v27, vcc_lo
	s_waitcnt lgkmcnt(5)
	global_store_dwordx2 v[26:27], v[2:3], off
	global_store_dwordx2 v[26:27], v[4:5], off offset:416
	s_waitcnt lgkmcnt(4)
	global_store_dwordx2 v[26:27], v[6:7], off offset:832
	global_store_dwordx2 v[26:27], v[8:9], off offset:1248
	s_waitcnt lgkmcnt(3)
	global_store_dwordx2 v[26:27], v[10:11], off offset:1664
	;; [unrolled: 3-line block ×3, first 2 shown]
	global_store_dwordx2 v[28:29], v[16:17], off offset:864
	v_add_nc_u32_e32 v6, 0x1400, v104
	v_add_nc_u32_e32 v14, 0x1800, v104
	ds_read2_b64 v[2:5], v30 offset0:112 offset1:164
	v_add_co_u32 v30, vcc_lo, 0x1000, v26
	ds_read2_b64 v[6:9], v6 offset0:88 offset1:140
	v_add_co_ci_u32_e32 v31, vcc_lo, 0, v27, vcc_lo
	ds_read2_b64 v[10:13], v14 offset0:64 offset1:116
	v_mov_b32_e32 v75, v73
	s_waitcnt lgkmcnt(4)
	global_store_dwordx2 v[28:29], v[18:19], off offset:1280
	global_store_dwordx2 v[28:29], v[20:21], off offset:1696
	s_waitcnt lgkmcnt(3)
	global_store_dwordx2 v[30:31], v[22:23], off offset:64
	global_store_dwordx2 v[30:31], v[24:25], off offset:480
	ds_read2_b64 v[14:17], v14 offset0:168 offset1:220
	ds_read_b64 v[20:21], v104 offset:8320
	v_add_co_u32 v22, vcc_lo, 0x1800, v26
	v_lshlrev_b64 v[18:19], 3, v[74:75]
	v_add_co_ci_u32_e32 v23, vcc_lo, 0, v27, vcc_lo
	v_add_co_u32 v18, vcc_lo, v0, v18
	v_add_co_ci_u32_e32 v19, vcc_lo, v1, v19, vcc_lo
	s_waitcnt lgkmcnt(4)
	global_store_dwordx2 v[30:31], v[2:3], off offset:896
	global_store_dwordx2 v[30:31], v[4:5], off offset:1312
	s_waitcnt lgkmcnt(3)
	global_store_dwordx2 v[30:31], v[6:7], off offset:1728
	global_store_dwordx2 v[22:23], v[8:9], off offset:96
	s_waitcnt lgkmcnt(2)
	global_store_dwordx2 v[18:19], v[10:11], off
	v_add_co_u32 v2, vcc_lo, 0x2000, v26
	v_add_co_ci_u32_e32 v3, vcc_lo, 0, v27, vcc_lo
	v_cmp_eq_u32_e32 vcc_lo, 51, v72
	global_store_dwordx2 v[22:23], v[12:13], off offset:928
	s_waitcnt lgkmcnt(1)
	global_store_dwordx2 v[22:23], v[14:15], off offset:1344
	global_store_dwordx2 v[22:23], v[16:17], off offset:1760
	s_waitcnt lgkmcnt(0)
	global_store_dwordx2 v[2:3], v[20:21], off offset:128
	s_and_b32 exec_lo, exec_lo, vcc_lo
	s_cbranch_execz .LBB0_32
; %bb.31:
	ds_read_b64 v[2:3], v73 offset:8736
	v_add_co_u32 v0, vcc_lo, 0x2000, v0
	v_add_co_ci_u32_e32 v1, vcc_lo, 0, v1, vcc_lo
	s_waitcnt lgkmcnt(0)
	global_store_dwordx2 v[0:1], v[2:3], off offset:544
.LBB0_32:
	s_endpgm
	.section	.rodata,"a",@progbits
	.p2align	6, 0x0
	.amdhsa_kernel fft_rtc_back_len1092_factors_2_2_13_7_3_wgs_52_tpt_52_halfLds_sp_ip_CI_unitstride_sbrr_R2C_dirReg
		.amdhsa_group_segment_fixed_size 0
		.amdhsa_private_segment_fixed_size 0
		.amdhsa_kernarg_size 88
		.amdhsa_user_sgpr_count 6
		.amdhsa_user_sgpr_private_segment_buffer 1
		.amdhsa_user_sgpr_dispatch_ptr 0
		.amdhsa_user_sgpr_queue_ptr 0
		.amdhsa_user_sgpr_kernarg_segment_ptr 1
		.amdhsa_user_sgpr_dispatch_id 0
		.amdhsa_user_sgpr_flat_scratch_init 0
		.amdhsa_user_sgpr_private_segment_size 0
		.amdhsa_wavefront_size32 1
		.amdhsa_uses_dynamic_stack 0
		.amdhsa_system_sgpr_private_segment_wavefront_offset 0
		.amdhsa_system_sgpr_workgroup_id_x 1
		.amdhsa_system_sgpr_workgroup_id_y 0
		.amdhsa_system_sgpr_workgroup_id_z 0
		.amdhsa_system_sgpr_workgroup_info 0
		.amdhsa_system_vgpr_workitem_id 0
		.amdhsa_next_free_vgpr 234
		.amdhsa_next_free_sgpr 21
		.amdhsa_reserve_vcc 1
		.amdhsa_reserve_flat_scratch 0
		.amdhsa_float_round_mode_32 0
		.amdhsa_float_round_mode_16_64 0
		.amdhsa_float_denorm_mode_32 3
		.amdhsa_float_denorm_mode_16_64 3
		.amdhsa_dx10_clamp 1
		.amdhsa_ieee_mode 1
		.amdhsa_fp16_overflow 0
		.amdhsa_workgroup_processor_mode 1
		.amdhsa_memory_ordered 1
		.amdhsa_forward_progress 0
		.amdhsa_shared_vgpr_count 0
		.amdhsa_exception_fp_ieee_invalid_op 0
		.amdhsa_exception_fp_denorm_src 0
		.amdhsa_exception_fp_ieee_div_zero 0
		.amdhsa_exception_fp_ieee_overflow 0
		.amdhsa_exception_fp_ieee_underflow 0
		.amdhsa_exception_fp_ieee_inexact 0
		.amdhsa_exception_int_div_zero 0
	.end_amdhsa_kernel
	.text
.Lfunc_end0:
	.size	fft_rtc_back_len1092_factors_2_2_13_7_3_wgs_52_tpt_52_halfLds_sp_ip_CI_unitstride_sbrr_R2C_dirReg, .Lfunc_end0-fft_rtc_back_len1092_factors_2_2_13_7_3_wgs_52_tpt_52_halfLds_sp_ip_CI_unitstride_sbrr_R2C_dirReg
                                        ; -- End function
	.section	.AMDGPU.csdata,"",@progbits
; Kernel info:
; codeLenInByte = 16100
; NumSgprs: 23
; NumVgprs: 234
; ScratchSize: 0
; MemoryBound: 0
; FloatMode: 240
; IeeeMode: 1
; LDSByteSize: 0 bytes/workgroup (compile time only)
; SGPRBlocks: 2
; VGPRBlocks: 29
; NumSGPRsForWavesPerEU: 23
; NumVGPRsForWavesPerEU: 234
; Occupancy: 4
; WaveLimiterHint : 1
; COMPUTE_PGM_RSRC2:SCRATCH_EN: 0
; COMPUTE_PGM_RSRC2:USER_SGPR: 6
; COMPUTE_PGM_RSRC2:TRAP_HANDLER: 0
; COMPUTE_PGM_RSRC2:TGID_X_EN: 1
; COMPUTE_PGM_RSRC2:TGID_Y_EN: 0
; COMPUTE_PGM_RSRC2:TGID_Z_EN: 0
; COMPUTE_PGM_RSRC2:TIDIG_COMP_CNT: 0
	.text
	.p2alignl 6, 3214868480
	.fill 48, 4, 3214868480
	.type	__hip_cuid_18cf1822f5811309,@object ; @__hip_cuid_18cf1822f5811309
	.section	.bss,"aw",@nobits
	.globl	__hip_cuid_18cf1822f5811309
__hip_cuid_18cf1822f5811309:
	.byte	0                               ; 0x0
	.size	__hip_cuid_18cf1822f5811309, 1

	.ident	"AMD clang version 19.0.0git (https://github.com/RadeonOpenCompute/llvm-project roc-6.4.0 25133 c7fe45cf4b819c5991fe208aaa96edf142730f1d)"
	.section	".note.GNU-stack","",@progbits
	.addrsig
	.addrsig_sym __hip_cuid_18cf1822f5811309
	.amdgpu_metadata
---
amdhsa.kernels:
  - .args:
      - .actual_access:  read_only
        .address_space:  global
        .offset:         0
        .size:           8
        .value_kind:     global_buffer
      - .offset:         8
        .size:           8
        .value_kind:     by_value
      - .actual_access:  read_only
        .address_space:  global
        .offset:         16
        .size:           8
        .value_kind:     global_buffer
      - .actual_access:  read_only
        .address_space:  global
        .offset:         24
        .size:           8
        .value_kind:     global_buffer
      - .offset:         32
        .size:           8
        .value_kind:     by_value
      - .actual_access:  read_only
        .address_space:  global
        .offset:         40
        .size:           8
        .value_kind:     global_buffer
      - .actual_access:  read_only
        .address_space:  global
        .offset:         48
        .size:           8
        .value_kind:     global_buffer
      - .offset:         56
        .size:           4
        .value_kind:     by_value
      - .actual_access:  read_only
        .address_space:  global
        .offset:         64
        .size:           8
        .value_kind:     global_buffer
      - .actual_access:  read_only
        .address_space:  global
        .offset:         72
        .size:           8
        .value_kind:     global_buffer
      - .address_space:  global
        .offset:         80
        .size:           8
        .value_kind:     global_buffer
    .group_segment_fixed_size: 0
    .kernarg_segment_align: 8
    .kernarg_segment_size: 88
    .language:       OpenCL C
    .language_version:
      - 2
      - 0
    .max_flat_workgroup_size: 52
    .name:           fft_rtc_back_len1092_factors_2_2_13_7_3_wgs_52_tpt_52_halfLds_sp_ip_CI_unitstride_sbrr_R2C_dirReg
    .private_segment_fixed_size: 0
    .sgpr_count:     23
    .sgpr_spill_count: 0
    .symbol:         fft_rtc_back_len1092_factors_2_2_13_7_3_wgs_52_tpt_52_halfLds_sp_ip_CI_unitstride_sbrr_R2C_dirReg.kd
    .uniform_work_group_size: 1
    .uses_dynamic_stack: false
    .vgpr_count:     234
    .vgpr_spill_count: 0
    .wavefront_size: 32
    .workgroup_processor_mode: 1
amdhsa.target:   amdgcn-amd-amdhsa--gfx1030
amdhsa.version:
  - 1
  - 2
...

	.end_amdgpu_metadata
